;; amdgpu-corpus repo=ROCm/rocFFT kind=compiled arch=gfx906 opt=O3
	.text
	.amdgcn_target "amdgcn-amd-amdhsa--gfx906"
	.amdhsa_code_object_version 6
	.protected	bluestein_single_fwd_len1287_dim1_half_op_CI_CI ; -- Begin function bluestein_single_fwd_len1287_dim1_half_op_CI_CI
	.globl	bluestein_single_fwd_len1287_dim1_half_op_CI_CI
	.p2align	8
	.type	bluestein_single_fwd_len1287_dim1_half_op_CI_CI,@function
bluestein_single_fwd_len1287_dim1_half_op_CI_CI: ; @bluestein_single_fwd_len1287_dim1_half_op_CI_CI
; %bb.0:
	s_load_dwordx4 s[12:15], s[4:5], 0x28
	v_mul_u32_u24_e32 v1, 0x231, v0
	v_add_u32_sdwa v22, s6, v1 dst_sel:DWORD dst_unused:UNUSED_PAD src0_sel:DWORD src1_sel:WORD_1
	v_mov_b32_e32 v23, 0
	s_waitcnt lgkmcnt(0)
	v_cmp_gt_u64_e32 vcc, s[12:13], v[22:23]
	s_and_saveexec_b64 s[0:1], vcc
	s_cbranch_execz .LBB0_31
; %bb.1:
	s_load_dwordx4 s[0:3], s[4:5], 0x18
	s_load_dwordx2 s[16:17], s[4:5], 0x0
	s_waitcnt lgkmcnt(0)
	s_load_dwordx4 s[8:11], s[0:1], 0x0
	s_movk_i32 s0, 0x75
	v_mul_lo_u16_sdwa v1, v1, s0 dst_sel:DWORD dst_unused:UNUSED_PAD src0_sel:WORD_1 src1_sel:DWORD
	v_sub_u16_e32 v53, v0, v1
	v_lshlrev_b32_e32 v45, 2, v53
	s_waitcnt lgkmcnt(0)
	v_mad_u64_u32 v[0:1], s[0:1], s10, v22, 0
	v_mad_u64_u32 v[2:3], s[0:1], s8, v53, 0
	v_add_co_u32_e64 v20, s[6:7], s16, v45
	v_mad_u64_u32 v[4:5], s[0:1], s11, v22, v[1:2]
	global_load_dword v55, v45, s[16:17]
	global_load_dword v54, v45, s[16:17] offset:1716
	v_mad_u64_u32 v[5:6], s[0:1], s9, v53, v[3:4]
	v_mov_b32_e32 v1, v4
	v_lshlrev_b64 v[0:1], 2, v[0:1]
	v_mov_b32_e32 v6, s15
	v_mov_b32_e32 v3, v5
	v_add_co_u32_e32 v4, vcc, s14, v0
	v_addc_co_u32_e32 v5, vcc, v6, v1, vcc
	v_lshlrev_b64 v[0:1], 2, v[2:3]
	s_mul_i32 s0, s9, 0x1ad
	v_add_co_u32_e32 v0, vcc, v4, v0
	v_addc_co_u32_e32 v1, vcc, v5, v1, vcc
	global_load_dword v4, v[0:1], off
	s_mul_hi_u32 s1, s8, 0x1ad
	v_mov_b32_e32 v2, s17
	s_add_i32 s1, s1, s0
	s_mul_i32 s0, s8, 0x1ad
	v_addc_co_u32_e64 v21, vcc, 0, v2, s[6:7]
	s_lshl_b64 s[14:15], s[0:1], 2
	v_mov_b32_e32 v5, s15
	v_add_co_u32_e32 v0, vcc, s14, v0
	v_addc_co_u32_e32 v1, vcc, v1, v5, vcc
	v_add_co_u32_e32 v2, vcc, s14, v0
	v_addc_co_u32_e32 v3, vcc, v1, v5, vcc
	global_load_dword v6, v[0:1], off
	global_load_dword v7, v[2:3], off
	global_load_dword v52, v45, s[16:17] offset:3432
	s_mul_hi_u32 s1, s8, 0xfffffd1b
	s_mul_i32 s0, s9, 0xfffffd1b
	s_sub_i32 s1, s1, s8
	s_add_i32 s1, s1, s0
	s_mul_i32 s0, s8, 0xfffffd1b
	s_lshl_b64 s[18:19], s[0:1], 2
	v_mov_b32_e32 v8, s19
	v_add_co_u32_e32 v0, vcc, s18, v2
	v_addc_co_u32_e32 v1, vcc, v3, v8, vcc
	global_load_dword v9, v[0:1], off
	global_load_dword v51, v45, s[16:17] offset:468
	v_add_co_u32_e32 v0, vcc, s14, v0
	v_addc_co_u32_e32 v1, vcc, v1, v5, vcc
	global_load_dword v10, v[0:1], off
	global_load_dword v50, v45, s[16:17] offset:2184
	;; [unrolled: 4-line block ×4, first 2 shown]
	global_load_dword v48, v45, s[16:17] offset:936
	v_add_co_u32_e32 v0, vcc, s14, v0
	v_addc_co_u32_e32 v1, vcc, v1, v5, vcc
	global_load_dword v12, v[0:1], off
	v_add_co_u32_e32 v0, vcc, s14, v0
	v_addc_co_u32_e32 v1, vcc, v1, v5, vcc
	s_movk_i32 s0, 0x1000
	v_add_co_u32_e32 v2, vcc, s0, v20
	global_load_dword v5, v[0:1], off
	v_addc_co_u32_e32 v3, vcc, 0, v21, vcc
	global_load_dword v46, v[2:3], off offset:272
	s_load_dwordx2 s[12:13], s[4:5], 0x38
	s_load_dwordx4 s[8:11], s[2:3], 0x0
	s_movk_i32 s0, 0x4e
	v_cmp_gt_u16_e64 s[0:1], s0, v53
	s_waitcnt vmcnt(15)
	v_lshrrev_b32_e32 v2, 16, v4
	v_mul_f16_sdwa v3, v55, v2 dst_sel:DWORD dst_unused:UNUSED_PAD src0_sel:WORD_1 src1_sel:DWORD
	v_fma_f16 v3, v55, v4, v3
	v_mul_f16_sdwa v4, v55, v4 dst_sel:DWORD dst_unused:UNUSED_PAD src0_sel:WORD_1 src1_sel:DWORD
	v_fma_f16 v2, v55, v2, -v4
	v_pack_b32_f16 v2, v3, v2
	s_waitcnt vmcnt(14)
	v_lshrrev_b32_e32 v3, 16, v6
	v_mul_f16_sdwa v4, v54, v3 dst_sel:DWORD dst_unused:UNUSED_PAD src0_sel:WORD_1 src1_sel:DWORD
	v_fma_f16 v4, v54, v6, v4
	v_mul_f16_sdwa v6, v54, v6 dst_sel:DWORD dst_unused:UNUSED_PAD src0_sel:WORD_1 src1_sel:DWORD
	v_fma_f16 v3, v54, v3, -v6
	v_pack_b32_f16 v3, v4, v3
	ds_write_b32 v45, v3 offset:1716
	s_waitcnt vmcnt(13)
	v_lshrrev_b32_e32 v3, 16, v7
	s_waitcnt vmcnt(12)
	v_mul_f16_sdwa v4, v52, v3 dst_sel:DWORD dst_unused:UNUSED_PAD src0_sel:WORD_1 src1_sel:DWORD
	v_mul_f16_sdwa v6, v52, v7 dst_sel:DWORD dst_unused:UNUSED_PAD src0_sel:WORD_1 src1_sel:DWORD
	v_fma_f16 v4, v52, v7, v4
	v_fma_f16 v3, v52, v3, -v6
	v_pack_b32_f16 v3, v4, v3
	ds_write_b32 v45, v3 offset:3432
	s_waitcnt vmcnt(11)
	v_lshrrev_b32_e32 v3, 16, v9
	s_waitcnt vmcnt(10)
	v_mul_f16_sdwa v4, v51, v3 dst_sel:DWORD dst_unused:UNUSED_PAD src0_sel:WORD_1 src1_sel:DWORD
	v_mul_f16_sdwa v6, v51, v9 dst_sel:DWORD dst_unused:UNUSED_PAD src0_sel:WORD_1 src1_sel:DWORD
	v_fma_f16 v4, v51, v9, v4
	v_fma_f16 v3, v51, v3, -v6
	v_pack_b32_f16 v3, v4, v3
	ds_write2_b32 v45, v2, v3 offset1:117
	s_waitcnt vmcnt(9)
	v_lshrrev_b32_e32 v2, 16, v10
	s_waitcnt vmcnt(8)
	v_mul_f16_sdwa v3, v50, v2 dst_sel:DWORD dst_unused:UNUSED_PAD src0_sel:WORD_1 src1_sel:DWORD
	v_mul_f16_sdwa v4, v50, v10 dst_sel:DWORD dst_unused:UNUSED_PAD src0_sel:WORD_1 src1_sel:DWORD
	v_fma_f16 v3, v50, v10, v3
	v_fma_f16 v2, v50, v2, -v4
	v_pack_b32_f16 v3, v3, v2
	s_waitcnt vmcnt(7)
	v_lshrrev_b32_e32 v2, 16, v11
	s_waitcnt vmcnt(6)
	v_mul_f16_sdwa v4, v49, v2 dst_sel:DWORD dst_unused:UNUSED_PAD src0_sel:WORD_1 src1_sel:DWORD
	v_mul_f16_sdwa v6, v49, v11 dst_sel:DWORD dst_unused:UNUSED_PAD src0_sel:WORD_1 src1_sel:DWORD
	v_fma_f16 v4, v49, v11, v4
	v_fma_f16 v2, v49, v2, -v6
	v_pack_b32_f16 v4, v4, v2
	;; [unrolled: 8-line block ×3, first 2 shown]
	ds_write_b32 v45, v2 offset:936
	s_waitcnt vmcnt(2)
	v_lshrrev_b32_e32 v2, 16, v12
	v_mul_f16_sdwa v6, v47, v2 dst_sel:DWORD dst_unused:UNUSED_PAD src0_sel:WORD_1 src1_sel:DWORD
	v_mul_f16_sdwa v7, v47, v12 dst_sel:DWORD dst_unused:UNUSED_PAD src0_sel:WORD_1 src1_sel:DWORD
	v_fma_f16 v6, v47, v12, v6
	v_fma_f16 v2, v47, v2, -v7
	v_pack_b32_f16 v6, v6, v2
	v_add_u32_e32 v2, 0x800, v45
	ds_write2_b32 v2, v3, v6 offset0:34 offset1:151
	s_waitcnt vmcnt(1)
	v_lshrrev_b32_e32 v3, 16, v5
	s_waitcnt vmcnt(0)
	v_mul_f16_sdwa v6, v46, v3 dst_sel:DWORD dst_unused:UNUSED_PAD src0_sel:WORD_1 src1_sel:DWORD
	v_fma_f16 v6, v46, v5, v6
	v_mul_f16_sdwa v5, v46, v5 dst_sel:DWORD dst_unused:UNUSED_PAD src0_sel:WORD_1 src1_sel:DWORD
	v_fma_f16 v3, v46, v3, -v5
	v_pack_b32_f16 v3, v6, v3
	v_add_u32_e32 v5, 0xe00, v45
	ds_write2_b32 v5, v4, v3 offset0:79 offset1:196
	s_and_saveexec_b64 s[2:3], s[0:1]
	s_cbranch_execz .LBB0_3
; %bb.2:
	v_mov_b32_e32 v3, s19
	v_add_co_u32_e32 v0, vcc, s18, v0
	v_addc_co_u32_e32 v1, vcc, v1, v3, vcc
	global_load_dword v3, v[0:1], off
	v_mov_b32_e32 v4, s15
	v_add_co_u32_e32 v0, vcc, s14, v0
	v_addc_co_u32_e32 v1, vcc, v1, v4, vcc
	global_load_dword v5, v[0:1], off
	global_load_dword v6, v[20:21], off offset:1404
	global_load_dword v7, v[20:21], off offset:3120
	v_add_co_u32_e32 v0, vcc, s14, v0
	v_addc_co_u32_e32 v1, vcc, v1, v4, vcc
	global_load_dword v4, v[0:1], off
	v_add_co_u32_e32 v0, vcc, 0x1000, v20
	v_addc_co_u32_e32 v1, vcc, 0, v21, vcc
	global_load_dword v0, v[0:1], off offset:740
	s_waitcnt vmcnt(5)
	v_lshrrev_b32_e32 v1, 16, v3
	s_waitcnt vmcnt(3)
	v_mul_f16_sdwa v8, v6, v3 dst_sel:DWORD dst_unused:UNUSED_PAD src0_sel:WORD_1 src1_sel:DWORD
	v_mul_f16_sdwa v9, v6, v1 dst_sel:DWORD dst_unused:UNUSED_PAD src0_sel:WORD_1 src1_sel:DWORD
	v_fma_f16 v1, v6, v1, -v8
	v_lshrrev_b32_e32 v8, 16, v5
	s_waitcnt vmcnt(2)
	v_mul_f16_sdwa v10, v7, v5 dst_sel:DWORD dst_unused:UNUSED_PAD src0_sel:WORD_1 src1_sel:DWORD
	v_fma_f16 v3, v6, v3, v9
	v_mul_f16_sdwa v6, v7, v8 dst_sel:DWORD dst_unused:UNUSED_PAD src0_sel:WORD_1 src1_sel:DWORD
	s_waitcnt vmcnt(1)
	v_lshrrev_b32_e32 v9, 16, v4
	v_fma_f16 v8, v7, v8, -v10
	v_pack_b32_f16 v1, v3, v1
	v_fma_f16 v3, v7, v5, v6
	s_waitcnt vmcnt(0)
	v_mul_f16_sdwa v10, v0, v4 dst_sel:DWORD dst_unused:UNUSED_PAD src0_sel:WORD_1 src1_sel:DWORD
	v_mul_f16_sdwa v5, v0, v9 dst_sel:DWORD dst_unused:UNUSED_PAD src0_sel:WORD_1 src1_sel:DWORD
	v_fma_f16 v6, v0, v9, -v10
	v_fma_f16 v0, v0, v4, v5
	ds_write_b32 v45, v1 offset:1404
	v_pack_b32_f16 v1, v3, v8
	v_pack_b32_f16 v0, v0, v6
	ds_write_b32 v45, v1 offset:3120
	ds_write_b32 v45, v0 offset:4836
.LBB0_3:
	s_or_b64 exec, exec, s[2:3]
	v_add_u32_e32 v0, 0x300, v45
	v_add_u32_e32 v3, 0xc00, v45
	s_waitcnt lgkmcnt(0)
	s_barrier
	ds_read2_b32 v[4:5], v45 offset1:117
	ds_read2_b32 v[0:1], v0 offset0:42 offset1:237
	ds_read2_b32 v[6:7], v3 offset0:90 offset1:207
	ds_read2_b32 v[2:3], v2 offset0:34 offset1:151
	ds_read_b32 v11, v45 offset:4368
                                        ; implicit-def: $vgpr8
                                        ; implicit-def: $vgpr9
                                        ; implicit-def: $vgpr10
	s_and_saveexec_b64 s[2:3], s[0:1]
	s_cbranch_execz .LBB0_5
; %bb.4:
	ds_read_b32 v8, v45 offset:1404
	ds_read_b32 v9, v45 offset:3120
	ds_read_b32 v10, v45 offset:4836
.LBB0_5:
	s_or_b64 exec, exec, s[2:3]
	s_waitcnt lgkmcnt(3)
	v_pk_add_f16 v12, v4, v1
	s_waitcnt lgkmcnt(2)
	v_pk_add_f16 v13, v1, v6
	v_pk_add_f16 v1, v1, v6 neg_lo:[0,1] neg_hi:[0,1]
	s_movk_i32 s2, 0x3aee
	v_pk_fma_f16 v4, v13, 0.5, v4 op_sel_hi:[1,0,1] neg_lo:[1,0,0] neg_hi:[1,0,0]
	v_pk_mul_f16 v1, v1, s2 op_sel_hi:[1,0]
	v_pk_add_f16 v13, v4, v1 op_sel:[0,1] op_sel_hi:[1,0]
	v_pk_add_f16 v14, v4, v1 op_sel:[0,1] op_sel_hi:[1,0] neg_lo:[0,1] neg_hi:[0,1]
	s_waitcnt lgkmcnt(1)
	v_pk_add_f16 v1, v5, v2
	v_pk_add_f16 v15, v1, v7
	;; [unrolled: 1-line block ×3, first 2 shown]
	v_pk_add_f16 v2, v2, v7 neg_lo:[0,1] neg_hi:[0,1]
	v_pk_fma_f16 v1, v1, 0.5, v5 op_sel_hi:[1,0,1] neg_lo:[1,0,0] neg_hi:[1,0,0]
	v_pk_mul_f16 v2, v2, s2 op_sel_hi:[1,0]
	v_pk_add_f16 v16, v1, v2 op_sel:[0,1] op_sel_hi:[1,0]
	v_pk_add_f16 v25, v1, v2 op_sel:[0,1] op_sel_hi:[1,0] neg_lo:[0,1] neg_hi:[0,1]
	v_pk_add_f16 v1, v0, v3
	s_waitcnt lgkmcnt(0)
	v_pk_add_f16 v23, v1, v11
	v_pk_add_f16 v1, v3, v11
	v_pk_fma_f16 v0, v1, 0.5, v0 op_sel_hi:[1,0,1] neg_lo:[1,0,0] neg_hi:[1,0,0]
	v_pk_add_f16 v1, v3, v11 neg_lo:[0,1] neg_hi:[0,1]
	v_pk_fma_f16 v29, v1, s2, v0 op_sel:[0,0,1] op_sel_hi:[1,0,0]
	v_pk_fma_f16 v32, v1, s2, v0 op_sel:[0,0,1] op_sel_hi:[1,0,0] neg_lo:[1,0,0] neg_hi:[1,0,0]
	v_pk_add_f16 v0, v8, v9
	v_pk_add_f16 v19, v0, v10
	;; [unrolled: 1-line block ×3, first 2 shown]
	v_pk_add_f16 v1, v9, v10 neg_lo:[0,1] neg_hi:[0,1]
	v_pk_fma_f16 v0, v0, 0.5, v8 op_sel_hi:[1,0,1] neg_lo:[1,0,0] neg_hi:[1,0,0]
	v_pk_mul_f16 v1, v1, s2 op_sel_hi:[1,0]
	v_pk_add_f16 v26, v0, v1 op_sel:[0,1] op_sel_hi:[1,0] neg_lo:[0,1] neg_hi:[0,1]
	v_pk_add_f16 v33, v0, v1 op_sel:[0,1] op_sel_hi:[1,0]
	v_mul_lo_u16_e32 v0, 3, v53
	s_mov_b32 s14, 0xffff
	s_load_dwordx2 s[4:5], s[4:5], 0x8
	v_add_co_u32_e32 v28, vcc, 0x75, v53
	v_lshlrev_b32_e32 v58, 2, v0
	v_bfi_b32 v0, s14, v14, v13
	v_bfi_b32 v1, s14, v13, v14
	s_waitcnt lgkmcnt(0)
	s_barrier
	ds_write2_b32 v58, v1, v0 offset0:1 offset1:2
	v_mul_u32_u24_e32 v0, 3, v28
	v_add_co_u32_e32 v27, vcc, 0xea, v53
	v_pk_add_f16 v12, v12, v6
	v_lshlrev_b32_e32 v60, 2, v0
	v_bfi_b32 v0, s14, v25, v16
	v_bfi_b32 v1, s14, v16, v25
	v_add_co_u32_e32 v31, vcc, 0x15f, v53
	ds_write_b32 v58, v12
	ds_write2_b32 v60, v1, v0 offset0:1 offset1:2
	v_mul_u32_u24_e32 v0, 3, v27
	v_lshlrev_b32_e32 v61, 2, v0
	v_alignbit_b32 v0, v29, v32, 16
	v_alignbit_b32 v1, v32, v29, 16
	v_mul_u32_u24_e32 v59, 3, v31
	ds_write_b32 v60, v15
	ds_write_b32 v61, v23
	ds_write2_b32 v61, v1, v0 offset0:1 offset1:2
	s_and_saveexec_b64 s[2:3], s[0:1]
	s_cbranch_execz .LBB0_7
; %bb.6:
	v_lshlrev_b32_e32 v0, 2, v59
	v_bfi_b32 v1, s14, v26, v33
	v_bfi_b32 v2, s14, v33, v26
	ds_write_b32 v0, v19
	ds_write2_b32 v0, v2, v1 offset0:1 offset1:2
.LBB0_7:
	s_or_b64 exec, exec, s[2:3]
	s_movk_i32 s2, 0x63
	v_lshrrev_b32_e32 v34, 16, v13
	v_lshrrev_b32_e32 v35, 16, v16
	;; [unrolled: 1-line block ×3, first 2 shown]
	v_cmp_gt_u16_e64 s[2:3], s2, v53
	v_lshrrev_b32_e32 v37, 16, v26
	s_waitcnt lgkmcnt(0)
	s_barrier
	s_waitcnt lgkmcnt(0)
                                        ; implicit-def: $vgpr36
                                        ; implicit-def: $vgpr40
	s_and_saveexec_b64 s[14:15], s[2:3]
	s_cbranch_execz .LBB0_9
; %bb.8:
	v_add_u32_e32 v0, 0x200, v45
	ds_read2_b32 v[14:15], v0 offset0:70 offset1:169
	v_add_u32_e32 v0, 0x400, v45
	ds_read2_b32 v[16:17], v0 offset0:140 offset1:239
	ds_read2_b32 v[12:13], v45 offset1:99
	v_add_u32_e32 v0, 0xc00, v45
	ds_read2_b32 v[18:19], v0 offset0:24 offset1:123
	v_add_u32_e32 v0, 0xe00, v45
	ds_read2_b32 v[25:26], v0 offset0:94 offset1:193
	ds_read_b32 v36, v45 offset:4752
	v_add_u32_e32 v0, 0x800, v45
	ds_read2_b32 v[23:24], v0 offset0:82 offset1:181
	s_mov_b32 s16, 0xffff
	s_waitcnt lgkmcnt(6)
	v_lshrrev_b32_e32 v34, 16, v14
	s_waitcnt lgkmcnt(5)
	v_lshrrev_b32_e32 v35, 16, v17
	;; [unrolled: 2-line block ×5, first 2 shown]
	v_bfi_b32 v33, s16, v25, v26
	s_waitcnt lgkmcnt(0)
	v_alignbit_b32 v32, v18, v24, 16
	v_bfi_b32 v25, s16, v17, v16
	v_bfi_b32 v14, s16, v14, v13
.LBB0_9:
	s_or_b64 exec, exec, s[14:15]
	s_movk_i32 s14, 0xab
	v_mul_lo_u16_sdwa v0, v53, s14 dst_sel:DWORD dst_unused:UNUSED_PAD src0_sel:BYTE_0 src1_sel:DWORD
	v_lshrrev_b16_e32 v57, 9, v0
	v_mul_lo_u16_e32 v0, 3, v57
	v_sub_u16_e32 v0, v53, v0
	v_and_b32_e32 v56, 0xff, v0
	v_mul_u32_u24_e32 v0, 12, v56
	v_lshlrev_b32_e32 v17, 2, v0
	global_load_dwordx4 v[0:3], v17, s[4:5]
	global_load_dwordx4 v[4:7], v17, s[4:5] offset:16
	global_load_dwordx4 v[8:11], v17, s[4:5] offset:32
	v_lshrrev_b32_e32 v17, 16, v15
	v_lshrrev_b32_e32 v65, 16, v33
	v_lshrrev_b32_e32 v67, 16, v14
	v_lshrrev_b32_e32 v18, 16, v25
	v_lshrrev_b32_e32 v38, 16, v23
	v_lshrrev_b32_e32 v64, 16, v19
	v_lshrrev_b32_e32 v63, 16, v32
	s_movk_i32 s16, 0x3b15
	s_movk_i32 s18, 0x388b
	s_mov_b32 s19, 0xb5ac
	s_movk_i32 s20, 0x2fb7
	s_mov_b32 s21, 0xbbc4
	s_mov_b32 s22, 0xb9fd
	v_mul_u32_u24_e32 v57, 39, v57
	s_waitcnt vmcnt(0)
	s_barrier
	v_mul_f16_sdwa v30, v17, v2 dst_sel:DWORD dst_unused:UNUSED_PAD src0_sel:DWORD src1_sel:WORD_1
	v_mul_f16_sdwa v66, v16, v3 dst_sel:DWORD dst_unused:UNUSED_PAD src0_sel:DWORD src1_sel:WORD_1
	;; [unrolled: 1-line block ×17, first 2 shown]
	v_fma_f16 v43, v15, v2, -v30
	v_fma_f16 v42, v24, v6, -v42
	v_fma_f16 v30, v26, v10, -v72
	v_fma_f16 v18, v18, v3, v66
	v_fma_f16 v24, v32, v6, v69
	;; [unrolled: 1-line block ×3, first 2 shown]
	v_fma_f16 v66, v36, v11, -v80
	v_fma_f16 v40, v40, v11, v81
	v_fma_f16 v69, v67, v0, v84
	v_fma_f16 v71, v13, v0, -v85
	v_mul_f16_sdwa v62, v15, v2 dst_sel:DWORD dst_unused:UNUSED_PAD src0_sel:DWORD src1_sel:WORD_1
	v_mul_f16_sdwa v74, v35, v4 dst_sel:DWORD dst_unused:UNUSED_PAD src0_sel:DWORD src1_sel:WORD_1
	;; [unrolled: 1-line block ×3, first 2 shown]
	v_fma_f16 v44, v16, v3, -v39
	v_fma_f16 v41, v23, v5, -v41
	;; [unrolled: 1-line block ×3, first 2 shown]
	v_fma_f16 v23, v38, v5, v68
	v_fma_f16 v38, v65, v10, v73
	v_fma_f16 v65, v34, v1, v82
	v_fma_f16 v70, v14, v1, -v83
	v_sub_f16_e32 v94, v69, v40
	v_sub_f16_e32 v103, v71, v66
	v_mul_f16_sdwa v77, v63, v7 dst_sel:DWORD dst_unused:UNUSED_PAD src0_sel:DWORD src1_sel:WORD_1
	v_mul_f16_sdwa v79, v33, v9 dst_sel:DWORD dst_unused:UNUSED_PAD src0_sel:DWORD src1_sel:WORD_1
	v_fma_f16 v17, v17, v2, v62
	v_fma_f16 v62, v25, v4, -v74
	v_fma_f16 v64, v33, v9, -v78
	v_add_f16_e32 v13, v71, v66
	v_sub_f16_e32 v93, v65, v38
	v_add_f16_e32 v15, v69, v40
	v_sub_f16_e32 v101, v70, v30
	v_mul_f16_e32 v74, 0xb770, v94
	v_mul_f16_e32 v78, 0xb770, v103
	v_mul_f16_sdwa v75, v25, v4 dst_sel:DWORD dst_unused:UNUSED_PAD src0_sel:DWORD src1_sel:WORD_1
	v_mul_f16_sdwa v76, v29, v7 dst_sel:DWORD dst_unused:UNUSED_PAD src0_sel:DWORD src1_sel:WORD_1
	v_fma_f16 v25, v29, v7, v77
	v_fma_f16 v29, v37, v9, v79
	v_add_f16_e32 v14, v70, v30
	v_add_f16_e32 v16, v65, v38
	v_mul_f16_e32 v73, 0xba95, v93
	v_mul_f16_e32 v77, 0xba95, v101
	;; [unrolled: 1-line block ×3, first 2 shown]
	v_fma_f16 v32, v13, s16, v74
	v_fma_f16 v34, v15, s16, -v78
	v_fma_f16 v19, v35, v4, v75
	v_mul_f16_e32 v80, 0xbb7b, v93
	v_fma_f16 v33, v14, s18, v73
	v_fma_f16 v35, v16, s18, -v77
	v_fma_f16 v36, v13, s18, v79
	v_add_f16_e32 v32, v12, v32
	v_add_f16_sdwa v34, v12, v34 dst_sel:DWORD dst_unused:UNUSED_PAD src0_sel:WORD_1 src1_sel:DWORD
	v_mul_f16_e32 v84, 0xba95, v103
	v_fma_f16 v37, v14, s19, v80
	v_add_f16_e32 v36, v12, v36
	v_add_f16_e32 v32, v33, v32
	;; [unrolled: 1-line block ×3, first 2 shown]
	v_fma_f16 v35, v15, s18, -v84
	v_mul_f16_e32 v85, 0xbb7b, v101
	v_add_f16_e32 v34, v37, v36
	v_add_f16_sdwa v35, v12, v35 dst_sel:DWORD dst_unused:UNUSED_PAD src0_sel:WORD_1 src1_sel:DWORD
	v_fma_f16 v36, v16, s19, -v85
	v_mul_f16_e32 v88, 0xbbf1, v94
	v_add_f16_e32 v35, v36, v35
	v_fma_f16 v36, v13, s20, v88
	v_mul_f16_e32 v90, 0xb3a8, v93
	v_add_f16_e32 v36, v12, v36
	v_fma_f16 v37, v14, s21, v90
	v_mul_f16_e32 v95, 0xbbf1, v103
	v_add_f16_e32 v36, v37, v36
	v_fma_f16 v37, v15, s20, -v95
	v_mul_f16_e32 v97, 0xb3a8, v101
	v_add_f16_sdwa v37, v12, v37 dst_sel:DWORD dst_unused:UNUSED_PAD src0_sel:WORD_1 src1_sel:DWORD
	v_fma_f16 v67, v16, s21, -v97
	v_mul_f16_e32 v100, 0xbb7b, v94
	v_add_f16_e32 v37, v67, v37
	v_fma_f16 v67, v13, s19, v100
	v_mul_f16_e32 v102, 0x394e, v93
	v_add_f16_e32 v67, v12, v67
	v_fma_f16 v68, v14, s22, v102
	v_mul_f16_e32 v107, 0xbb7b, v103
	v_add_f16_e32 v67, v68, v67
	v_fma_f16 v68, v15, s19, -v107
	v_mul_f16_e32 v108, 0x394e, v101
	v_add_f16_sdwa v68, v12, v68 dst_sel:DWORD dst_unused:UNUSED_PAD src0_sel:WORD_1 src1_sel:DWORD
	v_fma_f16 v72, v16, s22, -v108
	v_sub_f16_e32 v116, v17, v29
	v_add_f16_e32 v68, v72, v68
	v_add_f16_e32 v72, v43, v64
	v_mul_f16_e32 v83, 0xbbf1, v116
	v_fma_f16 v75, v72, s20, v83
	v_sub_f16_e32 v121, v43, v64
	v_add_f16_e32 v32, v75, v32
	v_add_f16_e32 v75, v17, v29
	v_mul_f16_e32 v87, 0xbbf1, v121
	v_fma_f16 v63, v63, v7, -v76
	v_fma_f16 v76, v75, s20, -v87
	v_mul_f16_e32 v92, 0xb3a8, v116
	v_add_f16_e32 v33, v76, v33
	v_fma_f16 v76, v72, s21, v92
	v_mul_f16_e32 v98, 0xb3a8, v121
	v_add_f16_e32 v34, v76, v34
	v_fma_f16 v76, v75, s21, -v98
	v_mul_f16_e32 v104, 0x3b7b, v116
	v_add_f16_e32 v35, v76, v35
	v_fma_f16 v76, v72, s19, v104
	v_mul_f16_e32 v109, 0x3b7b, v121
	v_add_f16_e32 v36, v76, v36
	;; [unrolled: 6-line block ×3, first 2 shown]
	v_fma_f16 v76, v75, s16, -v117
	v_sub_f16_e32 v125, v18, v26
	v_add_f16_e32 v68, v76, v68
	v_add_f16_e32 v76, v44, v39
	v_mul_f16_e32 v91, 0xbb7b, v125
	v_fma_f16 v81, v76, s19, v91
	v_sub_f16_e32 v129, v44, v39
	v_add_f16_e32 v32, v81, v32
	v_add_f16_e32 v81, v18, v26
	v_mul_f16_e32 v99, 0xbb7b, v129
	v_fma_f16 v82, v81, s19, -v99
	v_mul_f16_e32 v106, 0x394e, v125
	v_add_f16_e32 v33, v82, v33
	v_fma_f16 v82, v76, s22, v106
	v_mul_f16_e32 v110, 0x394e, v129
	v_add_f16_e32 v34, v82, v34
	v_fma_f16 v82, v81, s22, -v110
	v_mul_f16_e32 v113, 0x3770, v125
	v_add_f16_e32 v35, v82, v35
	v_fma_f16 v82, v76, s16, v113
	v_mul_f16_e32 v118, 0x3770, v129
	v_add_f16_e32 v36, v82, v36
	;; [unrolled: 6-line block ×3, first 2 shown]
	v_fma_f16 v82, v81, s20, -v126
	v_sub_f16_e32 v132, v19, v25
	v_add_f16_e32 v68, v82, v68
	v_add_f16_e32 v82, v62, v63
	v_mul_f16_e32 v105, 0xb94e, v132
	v_fma_f16 v86, v82, s22, v105
	v_sub_f16_e32 v135, v62, v63
	v_add_f16_e32 v32, v86, v32
	v_add_f16_e32 v86, v19, v25
	v_mul_f16_e32 v111, 0xb94e, v135
	v_fma_f16 v89, v86, s22, -v111
	v_mul_f16_e32 v115, 0x3bf1, v132
	v_add_f16_e32 v33, v89, v33
	v_fma_f16 v89, v82, s20, v115
	v_mul_f16_e32 v119, 0x3bf1, v135
	v_add_f16_e32 v34, v89, v34
	v_fma_f16 v89, v86, s20, -v119
	v_mul_f16_e32 v123, 0xba95, v132
	v_add_f16_e32 v35, v89, v35
	v_fma_f16 v89, v82, s18, v123
	v_mul_f16_e32 v127, 0xba95, v135
	v_add_f16_e32 v134, v89, v36
	v_fma_f16 v36, v86, s18, -v127
	v_mul_f16_e32 v130, 0x33a8, v132
	v_add_f16_e32 v37, v36, v37
	v_fma_f16 v36, v82, s21, v130
	v_mul_f16_e32 v133, 0x33a8, v135
	v_sub_f16_e32 v137, v23, v24
	v_add_f16_e32 v138, v36, v67
	v_fma_f16 v36, v86, s21, -v133
	v_add_f16_e32 v89, v41, v42
	v_mul_f16_e32 v114, 0xb3a8, v137
	v_sub_f16_e32 v139, v41, v42
	v_add_f16_e32 v140, v36, v68
	v_fma_f16 v36, v89, s21, v114
	v_add_f16_e32 v96, v23, v24
	v_mul_f16_e32 v120, 0xb3a8, v139
	v_add_f16_e32 v67, v36, v32
	v_fma_f16 v32, v96, s21, -v120
	v_mul_f16_e32 v124, 0x3770, v137
	v_add_f16_e32 v68, v32, v33
	v_fma_f16 v32, v89, s16, v124
	v_mul_f16_e32 v128, 0x3770, v139
	v_add_f16_e32 v34, v32, v34
	v_fma_f16 v32, v96, s16, -v128
	v_mul_f16_e32 v131, 0xb94e, v137
	v_add_f16_e32 v36, v32, v35
	v_fma_f16 v32, v89, s22, v131
	v_add_f16_e32 v35, v32, v134
	v_mul_f16_e32 v134, 0xb94e, v139
	v_fma_f16 v32, v96, s22, -v134
	v_mul_f16_e32 v136, 0x3a95, v137
	v_add_f16_e32 v37, v32, v37
	v_fma_f16 v32, v89, s18, v136
	v_add_f16_e32 v32, v32, v138
	v_mul_f16_e32 v138, 0x3a95, v139
	v_fma_f16 v33, v96, s18, -v138
	v_add_f16_e32 v33, v33, v140
	s_and_saveexec_b64 s[14:15], s[2:3]
	s_cbranch_execz .LBB0_11
; %bb.10:
	v_mul_f16_e32 v188, 0xb3a8, v103
	v_fma_f16 v189, v15, s21, v188
	v_mul_f16_e32 v190, 0x3770, v101
	v_add_f16_sdwa v189, v12, v189 dst_sel:DWORD dst_unused:UNUSED_PAD src0_sel:WORD_1 src1_sel:DWORD
	v_fma_f16 v191, v16, s16, v190
	v_add_f16_e32 v189, v191, v189
	v_mul_f16_e32 v191, 0xb94e, v121
	v_fma_f16 v192, v75, s22, v191
	v_add_f16_e32 v189, v192, v189
	v_mul_f16_e32 v192, 0x3a95, v129
	;; [unrolled: 3-line block ×4, first 2 shown]
	v_add_f16_e32 v71, v12, v71
	v_fma_f16 v195, v96, s20, v194
	v_add_f16_e32 v70, v71, v70
	v_add_f16_e32 v189, v195, v189
	v_mul_f16_e32 v195, 0xb3a8, v94
	v_add_f16_e32 v43, v70, v43
	v_fma_f16 v196, v13, s21, -v195
	v_mul_f16_e32 v197, 0x3770, v93
	v_add_f16_e32 v43, v43, v44
	v_add_f16_e32 v196, v12, v196
	v_fma_f16 v198, v14, s16, -v197
	v_add_f16_e32 v43, v43, v62
	v_add_f16_e32 v196, v198, v196
	v_mul_f16_e32 v198, 0xb94e, v116
	v_add_f16_e32 v41, v43, v41
	v_fma_f16 v199, v72, s22, -v198
	v_add_f16_e32 v41, v41, v42
	v_add_f16_e32 v196, v199, v196
	v_mul_f16_e32 v199, 0x3a95, v125
	;; [unrolled: 5-line block ×3, first 2 shown]
	v_add_f16_e32 v39, v39, v64
	v_fma_f16 v201, v82, s19, -v200
	v_add_f16_e32 v30, v39, v30
	v_add_f16_sdwa v39, v12, v69 dst_sel:DWORD dst_unused:UNUSED_PAD src0_sel:WORD_1 src1_sel:DWORD
	v_add_f16_e32 v196, v201, v196
	v_mul_f16_e32 v201, 0x3bf1, v137
	v_add_f16_e32 v39, v39, v65
	v_fma_f16 v202, v89, s20, -v201
	v_mul_f16_e32 v103, 0xb94e, v103
	v_add_f16_e32 v17, v39, v17
	v_add_f16_e32 v196, v202, v196
	v_fma_f16 v202, v15, s22, v103
	v_mul_f16_e32 v101, 0x3bf1, v101
	v_add_f16_e32 v17, v17, v18
	v_fma_f16 v18, v15, s21, -v188
	v_add_f16_sdwa v202, v12, v202 dst_sel:DWORD dst_unused:UNUSED_PAD src0_sel:WORD_1 src1_sel:DWORD
	v_fma_f16 v203, v16, s20, v101
	v_mul_f16_e32 v121, 0xba95, v121
	v_add_f16_e32 v17, v17, v19
	v_add_f16_sdwa v18, v12, v18 dst_sel:DWORD dst_unused:UNUSED_PAD src0_sel:WORD_1 src1_sel:DWORD
	v_fma_f16 v19, v16, s16, -v190
	v_add_f16_e32 v202, v203, v202
	v_fma_f16 v203, v75, s18, v121
	v_mul_f16_e32 v129, 0x33a8, v129
	v_add_f16_e32 v18, v19, v18
	v_fma_f16 v19, v75, s22, -v191
	v_add_f16_e32 v202, v203, v202
	v_fma_f16 v203, v81, s21, v129
	v_mul_f16_e32 v135, 0x3770, v135
	v_add_f16_e32 v18, v19, v18
	v_fma_f16 v19, v81, s18, -v192
	v_mul_f16_e32 v140, 0x3b15, v13
	v_mul_f16_e32 v141, 0x3b15, v15
	v_add_f16_e32 v202, v203, v202
	v_fma_f16 v203, v86, s16, v135
	v_mul_f16_e32 v139, 0xbb7b, v139
	v_add_f16_e32 v18, v19, v18
	v_fma_f16 v19, v86, s19, -v193
	v_mul_f16_e32 v142, 0x388b, v13
	v_mul_f16_e32 v143, 0x388b, v15
	;; [unrolled: 1-line block ×8, first 2 shown]
	v_add_f16_e32 v202, v203, v202
	v_fma_f16 v203, v96, s19, v139
	v_mul_f16_e32 v94, 0xb94e, v94
	v_add_f16_e32 v78, v78, v141
	v_sub_f16_e32 v74, v140, v74
	v_add_f16_e32 v17, v17, v23
	v_add_f16_e32 v18, v19, v18
	v_fma_f16 v19, v96, s20, -v194
	v_mul_f16_e32 v150, 0xb5ac, v14
	v_mul_f16_e32 v151, 0xb5ac, v16
	;; [unrolled: 1-line block ×6, first 2 shown]
	v_add_f16_e32 v202, v203, v202
	v_fma_f16 v203, v13, s22, -v94
	v_mul_f16_e32 v93, 0x3bf1, v93
	v_add_f16_e32 v107, v107, v147
	v_sub_f16_e32 v100, v146, v100
	v_add_f16_e32 v95, v95, v145
	v_sub_f16_e32 v88, v144, v88
	;; [unrolled: 2-line block ×3, first 2 shown]
	v_add_f16_sdwa v78, v12, v78 dst_sel:DWORD dst_unused:UNUSED_PAD src0_sel:WORD_1 src1_sel:DWORD
	v_add_f16_e32 v77, v77, v149
	v_add_f16_e32 v74, v12, v74
	v_sub_f16_e32 v73, v148, v73
	v_add_f16_e32 v17, v17, v24
	v_add_f16_e32 v18, v19, v18
	v_fma_f16 v19, v13, s21, v195
	v_fma_f16 v15, v15, s22, -v103
	v_fma_f16 v13, v13, s22, v94
	v_mul_f16_e32 v154, 0xb9fd, v14
	v_mul_f16_e32 v155, 0xb9fd, v16
	;; [unrolled: 1-line block ×8, first 2 shown]
	v_add_f16_e32 v203, v12, v203
	v_mul_f16_e32 v116, 0xba95, v116
	v_add_f16_sdwa v107, v12, v107 dst_sel:DWORD dst_unused:UNUSED_PAD src0_sel:WORD_1 src1_sel:DWORD
	v_add_f16_e32 v100, v12, v100
	v_add_f16_sdwa v95, v12, v95 dst_sel:DWORD dst_unused:UNUSED_PAD src0_sel:WORD_1 src1_sel:DWORD
	v_add_f16_e32 v97, v97, v153
	v_add_f16_e32 v88, v12, v88
	v_sub_f16_e32 v90, v152, v90
	v_add_f16_sdwa v84, v12, v84 dst_sel:DWORD dst_unused:UNUSED_PAD src0_sel:WORD_1 src1_sel:DWORD
	v_add_f16_e32 v85, v85, v151
	v_add_f16_e32 v79, v12, v79
	v_sub_f16_e32 v80, v150, v80
	v_add_f16_e32 v77, v77, v78
	v_add_f16_e32 v78, v87, v157
	;; [unrolled: 1-line block ×3, first 2 shown]
	v_sub_f16_e32 v74, v156, v83
	v_add_f16_e32 v17, v17, v25
	v_add_f16_e32 v19, v12, v19
	v_add_f16_sdwa v15, v12, v15 dst_sel:DWORD dst_unused:UNUSED_PAD src0_sel:WORD_1 src1_sel:DWORD
	v_fma_f16 v16, v16, s20, -v101
	v_add_f16_e32 v12, v12, v13
	v_fma_f16 v13, v14, s20, v93
	v_mul_f16_e32 v162, 0x3b15, v72
	v_mul_f16_e32 v163, 0x3b15, v75
	;; [unrolled: 1-line block ×8, first 2 shown]
	v_fma_f16 v204, v14, s20, -v93
	v_mul_f16_e32 v125, 0x33a8, v125
	v_add_f16_e32 v108, v108, v155
	v_sub_f16_e32 v102, v154, v102
	v_add_f16_e32 v95, v97, v95
	v_add_f16_e32 v97, v109, v161
	v_add_f16_e32 v88, v90, v88
	v_sub_f16_e32 v90, v160, v104
	v_add_f16_e32 v84, v85, v84
	v_add_f16_e32 v85, v98, v159
	v_add_f16_e32 v79, v80, v79
	v_sub_f16_e32 v80, v158, v92
	v_add_f16_e32 v77, v78, v77
	v_add_f16_e32 v78, v99, v165
	v_add_f16_e32 v73, v74, v73
	v_sub_f16_e32 v74, v164, v91
	v_add_f16_e32 v17, v17, v26
	v_add_f16_e32 v15, v16, v15
	v_fma_f16 v16, v75, s18, -v121
	v_add_f16_e32 v12, v13, v12
	v_fma_f16 v13, v72, s18, v116
	v_mul_f16_e32 v170, 0x2fb7, v76
	v_mul_f16_e32 v171, 0x2fb7, v81
	v_mul_f16_e32 v174, 0x2fb7, v82
	v_mul_f16_e32 v175, 0x2fb7, v86
	v_mul_f16_e32 v176, 0x388b, v82
	v_mul_f16_e32 v177, 0x388b, v86
	v_mul_f16_e32 v180, 0xbbc4, v89
	v_mul_f16_e32 v181, 0xbbc4, v96
	v_add_f16_e32 v203, v204, v203
	v_fma_f16 v204, v72, s18, -v116
	v_mul_f16_e32 v132, 0x3770, v132
	v_add_f16_e32 v107, v108, v107
	v_add_f16_e32 v108, v117, v163
	v_add_f16_e32 v100, v102, v100
	v_sub_f16_e32 v102, v162, v112
	v_add_f16_e32 v95, v97, v95
	v_add_f16_e32 v97, v118, v169
	v_add_f16_e32 v88, v90, v88
	v_sub_f16_e32 v90, v168, v113
	;; [unrolled: 4-line block ×4, first 2 shown]
	v_add_f16_e32 v17, v17, v29
	v_fma_f16 v23, v14, s16, v197
	v_add_f16_e32 v15, v16, v15
	v_fma_f16 v16, v81, s21, -v129
	v_add_f16_e32 v12, v13, v12
	v_fma_f16 v13, v76, s21, v125
	v_mul_f16_e32 v178, 0xbbc4, v82
	v_mul_f16_e32 v179, 0xbbc4, v86
	;; [unrolled: 1-line block ×6, first 2 shown]
	v_add_f16_e32 v203, v204, v203
	v_fma_f16 v204, v76, s21, -v125
	v_mul_f16_e32 v137, 0xbb7b, v137
	v_add_f16_e32 v107, v108, v107
	v_add_f16_e32 v108, v126, v171
	v_add_f16_e32 v100, v102, v100
	v_sub_f16_e32 v102, v170, v122
	v_add_f16_e32 v95, v97, v95
	v_add_f16_e32 v97, v127, v177
	v_add_f16_e32 v88, v90, v88
	v_sub_f16_e32 v90, v176, v123
	;; [unrolled: 4-line block ×4, first 2 shown]
	v_add_f16_e32 v17, v17, v38
	v_add_f16_e32 v19, v23, v19
	v_fma_f16 v23, v72, s22, v198
	v_add_f16_e32 v15, v16, v15
	v_fma_f16 v16, v86, s16, -v135
	v_add_f16_e32 v12, v13, v12
	v_fma_f16 v13, v82, s16, v132
	v_mul_f16_e32 v186, 0x388b, v89
	v_mul_f16_e32 v187, 0x388b, v96
	v_add_f16_e32 v203, v204, v203
	v_fma_f16 v204, v82, s16, -v132
	v_add_f16_e32 v107, v108, v107
	v_add_f16_e32 v108, v133, v179
	v_add_f16_e32 v100, v102, v100
	v_sub_f16_e32 v102, v178, v130
	v_add_f16_e32 v95, v97, v95
	v_add_f16_e32 v97, v134, v185
	v_add_f16_e32 v88, v90, v88
	v_sub_f16_e32 v90, v184, v131
	;; [unrolled: 4-line block ×3, first 2 shown]
	v_add_f16_e32 v77, v78, v77
	v_add_f16_e32 v73, v74, v73
	;; [unrolled: 1-line block ×5, first 2 shown]
	v_fma_f16 v23, v76, s18, v199
	v_add_f16_e32 v15, v16, v15
	v_fma_f16 v16, v96, s19, -v139
	v_add_f16_e32 v12, v13, v12
	v_fma_f16 v13, v89, s19, v137
	v_add_f16_e32 v203, v204, v203
	v_fma_f16 v204, v89, s19, -v137
	v_add_f16_e32 v107, v108, v107
	v_add_f16_e32 v108, v138, v187
	;; [unrolled: 1-line block ×3, first 2 shown]
	v_sub_f16_e32 v102, v186, v136
	v_add_f16_e32 v95, v97, v95
	v_add_f16_e32 v88, v90, v88
	v_add_f16_e32 v84, v85, v84
	v_add_f16_e32 v79, v80, v79
	v_add_f16_e32 v19, v23, v19
	v_fma_f16 v23, v82, s19, v200
	v_add_f16_e32 v15, v16, v15
	v_add_f16_e32 v12, v13, v12
	v_add_lshl_u32 v13, v57, v56, 2
	v_pack_b32_f16 v14, v30, v17
	v_pack_b32_f16 v16, v73, v77
	v_add_f16_e32 v203, v204, v203
	v_add_f16_e32 v107, v108, v107
	;; [unrolled: 1-line block ×4, first 2 shown]
	v_fma_f16 v23, v89, s20, v201
	ds_write2_b32 v13, v14, v16 offset1:3
	v_pack_b32_f16 v14, v79, v84
	v_pack_b32_f16 v16, v88, v95
	v_add_f16_e32 v19, v23, v19
	ds_write2_b32 v13, v14, v16 offset0:6 offset1:9
	v_pack_b32_f16 v14, v100, v107
	v_pack_b32_f16 v16, v203, v202
	ds_write2_b32 v13, v14, v16 offset0:12 offset1:15
	v_pack_b32_f16 v14, v196, v189
	v_pack_b32_f16 v16, v19, v18
	s_mov_b32 s16, 0x5040100
	ds_write2_b32 v13, v14, v16 offset0:18 offset1:21
	v_pack_b32_f16 v12, v12, v15
	v_perm_b32 v14, v33, v32, s16
	ds_write2_b32 v13, v12, v14 offset0:24 offset1:27
	v_perm_b32 v12, v37, v35, s16
	v_perm_b32 v14, v36, v34, s16
	ds_write2_b32 v13, v12, v14 offset0:30 offset1:33
	v_perm_b32 v12, v68, v67, s16
	ds_write_b32 v13, v12 offset:144
.LBB0_11:
	s_or_b64 exec, exec, s[14:15]
	v_add_u32_e32 v12, 0x300, v45
	v_add_u32_e32 v16, 0xc00, v45
	v_add_u32_e32 v18, 0x800, v45
	s_waitcnt lgkmcnt(0)
	s_barrier
	ds_read2_b32 v[14:15], v45 offset1:117
	ds_read2_b32 v[12:13], v12 offset0:42 offset1:237
	ds_read2_b32 v[16:17], v16 offset0:90 offset1:207
	;; [unrolled: 1-line block ×3, first 2 shown]
	ds_read_b32 v38, v45 offset:4368
	s_and_saveexec_b64 s[14:15], s[0:1]
	s_cbranch_execz .LBB0_13
; %bb.12:
	ds_read_b32 v32, v45 offset:1404
	ds_read_b32 v35, v45 offset:3120
	;; [unrolled: 1-line block ×3, first 2 shown]
	s_waitcnt lgkmcnt(2)
	v_lshrrev_b32_e32 v33, 16, v32
	s_waitcnt lgkmcnt(1)
	v_lshrrev_b32_e32 v37, 16, v35
	;; [unrolled: 2-line block ×3, first 2 shown]
.LBB0_13:
	s_or_b64 exec, exec, s[14:15]
	s_movk_i32 s14, 0xa5
	v_mul_lo_u16_sdwa v23, v53, s14 dst_sel:DWORD dst_unused:UNUSED_PAD src0_sel:BYTE_0 src1_sel:DWORD
	v_sub_u16_sdwa v24, v53, v23 dst_sel:DWORD dst_unused:UNUSED_PAD src0_sel:DWORD src1_sel:BYTE_1
	v_lshrrev_b16_e32 v24, 1, v24
	v_and_b32_e32 v24, 0x7f, v24
	v_add_u16_sdwa v23, v24, v23 dst_sel:DWORD dst_unused:UNUSED_PAD src0_sel:DWORD src1_sel:BYTE_1
	v_lshrrev_b16_e32 v23, 5, v23
	v_and_b32_e32 v39, 7, v23
	v_mul_lo_u16_e32 v23, 39, v39
	v_sub_u16_e32 v23, v53, v23
	v_and_b32_e32 v40, 0xff, v23
	v_mul_lo_u16_sdwa v23, v28, s14 dst_sel:DWORD dst_unused:UNUSED_PAD src0_sel:BYTE_0 src1_sel:DWORD
	v_sub_u16_sdwa v24, v28, v23 dst_sel:DWORD dst_unused:UNUSED_PAD src0_sel:DWORD src1_sel:BYTE_1
	v_lshrrev_b16_e32 v24, 1, v24
	v_and_b32_e32 v24, 0x7f, v24
	v_add_u16_sdwa v23, v24, v23 dst_sel:DWORD dst_unused:UNUSED_PAD src0_sel:DWORD src1_sel:BYTE_1
	v_lshrrev_b16_e32 v23, 5, v23
	v_and_b32_e32 v42, 7, v23
	v_mul_lo_u16_e32 v23, 39, v42
	v_sub_u16_e32 v23, v28, v23
	s_mov_b32 s14, 0xa41b
	v_and_b32_e32 v43, 0xff, v23
	v_mul_u32_u24_sdwa v23, v27, s14 dst_sel:DWORD dst_unused:UNUSED_PAD src0_sel:WORD_0 src1_sel:DWORD
	v_sub_u16_sdwa v24, v27, v23 dst_sel:DWORD dst_unused:UNUSED_PAD src0_sel:DWORD src1_sel:WORD_1
	v_lshrrev_b16_e32 v24, 1, v24
	v_add_u16_sdwa v23, v24, v23 dst_sel:DWORD dst_unused:UNUSED_PAD src0_sel:DWORD src1_sel:WORD_1
	v_lshrrev_b16_e32 v66, 5, v23
	v_mul_lo_u16_e32 v23, 39, v66
	v_sub_u16_e32 v71, v27, v23
	v_lshlrev_b16_e32 v23, 3, v71
	v_lshlrev_b32_e32 v41, 3, v40
	v_mov_b32_e32 v64, s5
	v_add_co_u32_e32 v23, vcc, s4, v23
	v_lshlrev_b32_e32 v44, 3, v43
	v_addc_co_u32_e32 v24, vcc, 0, v64, vcc
	global_load_dwordx2 v[29:30], v41, s[4:5] offset:144
	global_load_dwordx2 v[27:28], v44, s[4:5] offset:144
	global_load_dwordx2 v[25:26], v[23:24], off offset:144
	v_mul_u32_u24_sdwa v23, v31, s14 dst_sel:DWORD dst_unused:UNUSED_PAD src0_sel:WORD_0 src1_sel:DWORD
	v_sub_u16_sdwa v24, v31, v23 dst_sel:DWORD dst_unused:UNUSED_PAD src0_sel:DWORD src1_sel:WORD_1
	v_lshrrev_b16_e32 v24, 1, v24
	v_add_u16_sdwa v23, v24, v23 dst_sel:DWORD dst_unused:UNUSED_PAD src0_sel:DWORD src1_sel:WORD_1
	v_lshrrev_b16_e32 v62, 5, v23
	v_mul_lo_u16_e32 v23, 39, v62
	v_sub_u16_e32 v63, v31, v23
	v_lshlrev_b16_e32 v23, 3, v63
	v_add_co_u32_e32 v23, vcc, s4, v23
	v_addc_co_u32_e32 v24, vcc, 0, v64, vcc
	global_load_dwordx2 v[23:24], v[23:24], off offset:144
	s_waitcnt lgkmcnt(3)
	v_lshrrev_b32_e32 v41, 16, v13
	s_waitcnt lgkmcnt(2)
	v_lshrrev_b32_e32 v44, 16, v16
	s_waitcnt lgkmcnt(1)
	v_lshrrev_b32_e32 v65, 16, v18
	v_lshrrev_b32_e32 v31, 16, v14
	v_lshrrev_b32_e32 v69, 16, v17
	s_movk_i32 s14, 0x3aee
	s_mov_b32 s15, 0xbaee
	v_lshrrev_b32_e32 v64, 16, v15
	v_lshrrev_b32_e32 v72, 16, v19
	s_waitcnt lgkmcnt(0)
	v_lshrrev_b32_e32 v73, 16, v38
	s_movk_i32 s16, 0x75
	v_mul_u32_u24_sdwa v39, v39, s16 dst_sel:DWORD dst_unused:UNUSED_PAD src0_sel:WORD_0 src1_sel:DWORD
	v_lshrrev_b32_e32 v70, 16, v12
	s_waitcnt vmcnt(0)
	s_barrier
	v_mul_f16_sdwa v74, v41, v29 dst_sel:DWORD dst_unused:UNUSED_PAD src0_sel:DWORD src1_sel:WORD_1
	v_mul_f16_sdwa v75, v13, v29 dst_sel:DWORD dst_unused:UNUSED_PAD src0_sel:DWORD src1_sel:WORD_1
	;; [unrolled: 1-line block ×4, first 2 shown]
	v_fma_f16 v74, v13, v29, -v74
	v_fma_f16 v41, v41, v29, v75
	v_fma_f16 v75, v16, v30, -v76
	v_fma_f16 v44, v44, v30, v77
	v_mul_f16_sdwa v78, v65, v27 dst_sel:DWORD dst_unused:UNUSED_PAD src0_sel:DWORD src1_sel:WORD_1
	v_mul_f16_sdwa v79, v18, v27 dst_sel:DWORD dst_unused:UNUSED_PAD src0_sel:DWORD src1_sel:WORD_1
	;; [unrolled: 1-line block ×3, first 2 shown]
	v_fma_f16 v76, v18, v27, -v78
	v_mul_f16_sdwa v81, v17, v28 dst_sel:DWORD dst_unused:UNUSED_PAD src0_sel:DWORD src1_sel:WORD_1
	v_fma_f16 v77, v17, v28, -v80
	v_fma_f16 v65, v65, v27, v79
	v_mul_f16_sdwa v86, v37, v23 dst_sel:DWORD dst_unused:UNUSED_PAD src0_sel:DWORD src1_sel:WORD_1
	v_mul_f16_sdwa v87, v35, v23 dst_sel:DWORD dst_unused:UNUSED_PAD src0_sel:DWORD src1_sel:WORD_1
	;; [unrolled: 1-line block ×3, first 2 shown]
	v_fma_f16 v13, v35, v23, -v86
	v_add_f16_e32 v35, v74, v75
	v_mul_f16_sdwa v89, v34, v24 dst_sel:DWORD dst_unused:UNUSED_PAD src0_sel:DWORD src1_sel:WORD_1
	v_fma_f16 v16, v34, v24, -v88
	v_add_f16_e32 v34, v14, v74
	v_fma_f16 v14, v35, -0.5, v14
	v_sub_f16_e32 v35, v41, v44
	v_fma_f16 v18, v36, v24, v89
	v_fma_f16 v36, v35, s14, v14
	;; [unrolled: 1-line block ×3, first 2 shown]
	v_add_f16_e32 v14, v31, v41
	v_fma_f16 v17, v37, v23, v87
	v_add_f16_e32 v37, v14, v44
	v_add_f16_e32 v14, v41, v44
	v_fma_f16 v14, v14, -0.5, v31
	v_sub_f16_e32 v31, v74, v75
	v_fma_f16 v41, v31, s15, v14
	v_fma_f16 v31, v31, s14, v14
	v_add_f16_e32 v14, v15, v76
	v_fma_f16 v69, v69, v28, v81
	v_add_f16_e32 v44, v14, v77
	v_add_f16_e32 v14, v76, v77
	v_fma_f16 v14, v14, -0.5, v15
	v_sub_f16_e32 v15, v65, v69
	v_add_f16_e32 v34, v34, v75
	v_fma_f16 v74, v15, s14, v14
	v_fma_f16 v75, v15, s15, v14
	v_add_f16_e32 v14, v64, v65
	v_mul_f16_sdwa v82, v72, v25 dst_sel:DWORD dst_unused:UNUSED_PAD src0_sel:DWORD src1_sel:WORD_1
	v_add_f16_e32 v78, v14, v69
	v_add_f16_e32 v14, v65, v69
	v_mul_f16_sdwa v83, v19, v25 dst_sel:DWORD dst_unused:UNUSED_PAD src0_sel:DWORD src1_sel:WORD_1
	v_mul_f16_sdwa v84, v73, v26 dst_sel:DWORD dst_unused:UNUSED_PAD src0_sel:DWORD src1_sel:WORD_1
	v_fma_f16 v19, v19, v25, -v82
	v_fma_f16 v14, v14, -0.5, v64
	v_sub_f16_e32 v15, v76, v77
	v_mul_f16_sdwa v85, v38, v26 dst_sel:DWORD dst_unused:UNUSED_PAD src0_sel:DWORD src1_sel:WORD_1
	v_fma_f16 v38, v38, v26, -v84
	v_fma_f16 v76, v15, s15, v14
	v_fma_f16 v77, v15, s14, v14
	v_add_f16_e32 v14, v12, v19
	v_fma_f16 v72, v72, v25, v83
	v_fma_f16 v73, v73, v26, v85
	v_add_f16_e32 v79, v14, v38
	v_add_f16_e32 v14, v19, v38
	v_fma_f16 v12, v14, -0.5, v12
	v_sub_f16_e32 v14, v72, v73
	v_add_lshl_u32 v64, v39, v40, 2
	v_pack_b32_f16 v31, v35, v31
	v_fma_f16 v80, v14, s14, v12
	v_fma_f16 v81, v14, s15, v12
	v_add_f16_e32 v12, v70, v72
	v_pack_b32_f16 v34, v34, v37
	v_pack_b32_f16 v36, v36, v41
	ds_write_b32 v64, v31 offset:312
	v_mul_u32_u24_sdwa v31, v42, s16 dst_sel:DWORD dst_unused:UNUSED_PAD src0_sel:WORD_0 src1_sel:DWORD
	v_add_f16_e32 v82, v12, v73
	v_add_f16_e32 v12, v72, v73
	ds_write2_b32 v64, v34, v36 offset1:39
	v_add_lshl_u32 v65, v31, v43, 2
	v_pack_b32_f16 v31, v44, v78
	v_pack_b32_f16 v34, v74, v76
	v_fma_f16 v12, v12, -0.5, v70
	v_sub_f16_e32 v14, v19, v38
	ds_write2_b32 v65, v31, v34 offset1:39
	v_pack_b32_f16 v31, v75, v77
	v_fma_f16 v38, v14, s15, v12
	v_fma_f16 v72, v14, s14, v12
	v_add_f16_e32 v12, v13, v16
	v_add_f16_e32 v15, v17, v18
	ds_write_b32 v65, v31 offset:312
	v_mad_legacy_u16 v31, v66, s16, v71
	v_fma_f16 v12, v12, -0.5, v32
	v_sub_f16_e32 v14, v17, v18
	v_fma_f16 v15, v15, -0.5, v33
	v_sub_f16_e32 v19, v13, v16
	v_lshlrev_b32_e32 v66, 2, v31
	v_pack_b32_f16 v31, v79, v82
	v_pack_b32_f16 v34, v80, v38
	v_fma_f16 v69, v14, s15, v12
	v_fma_f16 v70, v19, s14, v15
	ds_write2_b32 v66, v31, v34 offset1:39
	v_pack_b32_f16 v31, v81, v72
	ds_write_b32 v66, v31 offset:312
	s_and_saveexec_b64 s[14:15], s[0:1]
	s_cbranch_execz .LBB0_15
; %bb.14:
	v_mul_f16_e32 v14, 0x3aee, v14
	v_mul_f16_e32 v19, 0x3aee, v19
	v_add_f16_e32 v17, v33, v17
	v_add_f16_e32 v13, v32, v13
	v_sub_f16_e32 v15, v15, v19
	v_add_f16_e32 v17, v17, v18
	v_add_f16_e32 v12, v14, v12
	;; [unrolled: 1-line block ×3, first 2 shown]
	v_mad_legacy_u16 v14, v62, s16, v63
	v_lshlrev_b32_e32 v14, 2, v14
	v_pack_b32_f16 v13, v13, v17
	v_pack_b32_f16 v12, v12, v15
	s_mov_b32 s16, 0x5040100
	ds_write2_b32 v14, v13, v12 offset1:39
	v_perm_b32 v12, v70, v69, s16
	ds_write_b32 v14, v12 offset:312
.LBB0_15:
	s_or_b64 exec, exec, s[14:15]
	v_mad_u64_u32 v[33:34], s[4:5], v53, 40, s[4:5]
	s_waitcnt lgkmcnt(0)
	s_barrier
	global_load_dwordx4 v[12:15], v[33:34], off offset:456
	global_load_dwordx4 v[16:19], v[33:34], off offset:472
	global_load_dwordx2 v[31:32], v[33:34], off offset:488
	ds_read2_b32 v[33:34], v45 offset1:117
	v_mov_b32_e32 v38, s17
	v_add_u32_e32 v44, 0x200, v45
	v_add_u32_e32 v37, 0x600, v45
	;; [unrolled: 1-line block ×4, first 2 shown]
	ds_read_b32 v73, v45 offset:4680
	v_addc_co_u32_e64 v74, vcc, 0, v38, s[6:7]
	ds_read2_b32 v[38:39], v44 offset0:106 offset1:223
	ds_read2_b32 v[40:41], v37 offset0:84 offset1:201
	;; [unrolled: 1-line block ×4, first 2 shown]
	s_waitcnt lgkmcnt(5)
	v_lshrrev_b32_e32 v75, 16, v34
	s_waitcnt lgkmcnt(3)
	v_lshrrev_b32_e32 v77, 16, v38
	v_lshrrev_b32_e32 v78, 16, v39
	s_waitcnt lgkmcnt(2)
	v_lshrrev_b32_e32 v79, 16, v40
	;; [unrolled: 3-line block ×3, first 2 shown]
	v_lshrrev_b32_e32 v82, 16, v43
	v_lshrrev_b32_e32 v76, 16, v73
	s_waitcnt lgkmcnt(0)
	v_lshrrev_b32_e32 v83, 16, v71
	v_lshrrev_b32_e32 v84, 16, v72
	s_movk_i32 s6, 0x3abb
	s_movk_i32 s4, 0x36a6
	s_mov_b32 s5, 0xb08e
	s_mov_b32 s7, 0xb93d
	;; [unrolled: 1-line block ×3, first 2 shown]
	s_waitcnt vmcnt(2)
	v_mul_f16_sdwa v86, v34, v12 dst_sel:DWORD dst_unused:UNUSED_PAD src0_sel:DWORD src1_sel:WORD_1
	v_mul_f16_sdwa v85, v75, v12 dst_sel:DWORD dst_unused:UNUSED_PAD src0_sel:DWORD src1_sel:WORD_1
	;; [unrolled: 1-line block ×3, first 2 shown]
	v_fma_f16 v75, v75, v12, v86
	v_mul_f16_sdwa v87, v77, v13 dst_sel:DWORD dst_unused:UNUSED_PAD src0_sel:DWORD src1_sel:WORD_1
	v_mul_f16_sdwa v90, v39, v14 dst_sel:DWORD dst_unused:UNUSED_PAD src0_sel:DWORD src1_sel:WORD_1
	v_fma_f16 v34, v34, v12, -v85
	v_fma_f16 v77, v77, v13, v88
	v_add_f16_sdwa v86, v33, v75 dst_sel:DWORD dst_unused:UNUSED_PAD src0_sel:WORD_1 src1_sel:DWORD
	v_mul_f16_sdwa v89, v78, v14 dst_sel:DWORD dst_unused:UNUSED_PAD src0_sel:DWORD src1_sel:WORD_1
	v_mul_f16_sdwa v92, v40, v15 dst_sel:DWORD dst_unused:UNUSED_PAD src0_sel:DWORD src1_sel:WORD_1
	v_fma_f16 v38, v38, v13, -v87
	v_fma_f16 v78, v78, v14, v90
	v_add_f16_e32 v85, v33, v34
	v_add_f16_e32 v86, v86, v77
	v_mul_f16_sdwa v91, v79, v15 dst_sel:DWORD dst_unused:UNUSED_PAD src0_sel:DWORD src1_sel:WORD_1
	s_waitcnt vmcnt(1)
	v_mul_f16_sdwa v94, v41, v16 dst_sel:DWORD dst_unused:UNUSED_PAD src0_sel:DWORD src1_sel:WORD_1
	v_fma_f16 v39, v39, v14, -v89
	v_fma_f16 v79, v79, v15, v92
	v_add_f16_e32 v85, v85, v38
	v_add_f16_e32 v86, v86, v78
	v_mul_f16_sdwa v93, v80, v16 dst_sel:DWORD dst_unused:UNUSED_PAD src0_sel:DWORD src1_sel:WORD_1
	v_mul_f16_sdwa v96, v42, v17 dst_sel:DWORD dst_unused:UNUSED_PAD src0_sel:DWORD src1_sel:WORD_1
	v_fma_f16 v40, v40, v15, -v91
	v_fma_f16 v80, v80, v16, v94
	v_add_f16_e32 v85, v85, v39
	v_add_f16_e32 v86, v86, v79
	v_mul_f16_sdwa v95, v81, v17 dst_sel:DWORD dst_unused:UNUSED_PAD src0_sel:DWORD src1_sel:WORD_1
	;; [unrolled: 6-line block ×4, first 2 shown]
	s_waitcnt vmcnt(0)
	v_mul_f16_sdwa v102, v72, v31 dst_sel:DWORD dst_unused:UNUSED_PAD src0_sel:DWORD src1_sel:WORD_1
	v_mul_f16_sdwa v103, v76, v32 dst_sel:DWORD dst_unused:UNUSED_PAD src0_sel:DWORD src1_sel:WORD_1
	;; [unrolled: 1-line block ×3, first 2 shown]
	v_fma_f16 v43, v43, v18, -v97
	v_fma_f16 v83, v83, v19, v100
	v_add_f16_e32 v85, v85, v42
	v_add_f16_e32 v86, v86, v82
	v_mul_f16_sdwa v101, v84, v31 dst_sel:DWORD dst_unused:UNUSED_PAD src0_sel:DWORD src1_sel:WORD_1
	v_fma_f16 v71, v71, v19, -v99
	v_fma_f16 v84, v84, v31, v102
	v_fma_f16 v73, v73, v32, -v103
	v_fma_f16 v76, v76, v32, v104
	v_add_f16_e32 v85, v85, v43
	v_add_f16_e32 v86, v86, v83
	v_fma_f16 v72, v72, v31, -v101
	v_add_f16_e32 v87, v34, v73
	v_add_f16_e32 v88, v75, v76
	v_sub_f16_e32 v34, v34, v73
	v_sub_f16_e32 v75, v75, v76
	v_add_f16_e32 v85, v85, v71
	v_add_f16_e32 v86, v86, v84
	v_mul_f16_e32 v89, 0xb853, v75
	v_add_f16_e32 v85, v85, v72
	v_add_f16_e32 v76, v86, v76
	v_mul_f16_e32 v86, 0xb853, v34
	v_mul_f16_e32 v91, 0xbb47, v75
	;; [unrolled: 1-line block ×9, first 2 shown]
	v_add_f16_e32 v85, v85, v73
	v_fma_f16 v73, v87, s6, -v89
	v_fma_f16 v90, v88, s6, v86
	v_fma_f16 v89, v87, s6, v89
	v_fma_f16 v86, v88, s6, -v86
	v_fma_f16 v92, v87, s4, -v91
	v_fma_f16 v94, v88, s4, v93
	v_fma_f16 v91, v87, s4, v91
	v_fma_f16 v93, v88, s4, -v93
	;; [unrolled: 4-line block ×5, first 2 shown]
	v_add_f16_e32 v73, v33, v73
	v_add_f16_sdwa v90, v33, v90 dst_sel:DWORD dst_unused:UNUSED_PAD src0_sel:WORD_1 src1_sel:DWORD
	v_add_f16_e32 v89, v33, v89
	v_add_f16_sdwa v86, v33, v86 dst_sel:DWORD dst_unused:UNUSED_PAD src0_sel:WORD_1 src1_sel:DWORD
	;; [unrolled: 2-line block ×10, first 2 shown]
	v_add_f16_e32 v34, v38, v72
	v_sub_f16_e32 v38, v38, v72
	v_sub_f16_e32 v72, v77, v84
	v_add_f16_e32 v87, v77, v84
	v_mul_f16_e32 v77, 0xbb47, v72
	v_fma_f16 v84, v34, s4, -v77
	v_add_f16_e32 v73, v84, v73
	v_mul_f16_e32 v84, 0xbb47, v38
	v_fma_f16 v88, v87, s4, v84
	v_fma_f16 v84, v87, s4, -v84
	v_fma_f16 v77, v34, s4, v77
	v_add_f16_e32 v84, v84, v86
	v_mul_f16_e32 v86, 0xba0c, v72
	v_add_f16_e32 v88, v88, v90
	v_add_f16_e32 v77, v77, v89
	v_fma_f16 v89, v34, s7, -v86
	v_mul_f16_e32 v90, 0xba0c, v38
	v_fma_f16 v86, v34, s7, v86
	v_add_f16_e32 v89, v89, v92
	v_fma_f16 v92, v87, s7, v90
	v_add_f16_e32 v86, v86, v91
	v_fma_f16 v90, v87, s7, -v90
	v_mul_f16_e32 v91, 0x3482, v72
	v_add_f16_e32 v92, v92, v94
	v_add_f16_e32 v90, v90, v93
	v_fma_f16 v93, v34, s14, -v91
	v_mul_f16_e32 v94, 0x3482, v38
	v_fma_f16 v91, v34, s14, v91
	v_add_f16_e32 v93, v93, v96
	v_fma_f16 v96, v87, s14, v94
	v_add_f16_e32 v91, v91, v95
	v_fma_f16 v94, v87, s14, -v94
	v_mul_f16_e32 v95, 0x3beb, v72
	v_add_f16_e32 v96, v96, v98
	v_add_f16_e32 v94, v94, v97
	v_fma_f16 v97, v34, s5, -v95
	v_mul_f16_e32 v98, 0x3beb, v38
	v_add_f16_e32 v97, v97, v100
	v_fma_f16 v100, v87, s5, v98
	v_fma_f16 v98, v87, s5, -v98
	v_mul_f16_e32 v38, 0x3853, v38
	v_fma_f16 v95, v34, s5, v95
	v_add_f16_e32 v98, v98, v101
	v_mul_f16_e32 v72, 0x3853, v72
	v_fma_f16 v101, v87, s6, v38
	v_fma_f16 v38, v87, s6, -v38
	v_add_f16_e32 v95, v95, v99
	v_fma_f16 v99, v34, s6, -v72
	v_fma_f16 v34, v34, s6, v72
	v_add_f16_e32 v33, v38, v33
	v_add_f16_e32 v38, v39, v71
	v_sub_f16_e32 v39, v39, v71
	v_sub_f16_e32 v71, v78, v83
	v_add_f16_e32 v34, v34, v75
	v_mul_f16_e32 v75, 0xbbeb, v71
	v_add_f16_e32 v72, v78, v83
	v_fma_f16 v78, v38, s5, -v75
	v_add_f16_e32 v73, v78, v73
	v_mul_f16_e32 v78, 0xbbeb, v39
	v_fma_f16 v75, v38, s5, v75
	v_fma_f16 v83, v72, s5, v78
	v_add_f16_e32 v75, v75, v77
	v_fma_f16 v77, v72, s5, -v78
	v_mul_f16_e32 v78, 0x3482, v71
	v_add_f16_e32 v77, v77, v84
	v_fma_f16 v84, v38, s14, -v78
	v_mul_f16_e32 v87, 0x3482, v39
	v_fma_f16 v78, v38, s14, v78
	v_add_f16_e32 v83, v83, v88
	v_fma_f16 v88, v72, s14, v87
	v_add_f16_e32 v78, v78, v86
	v_fma_f16 v86, v72, s14, -v87
	v_mul_f16_e32 v87, 0x3b47, v71
	v_add_f16_e32 v84, v84, v89
	v_fma_f16 v89, v38, s4, -v87
	v_fma_f16 v87, v38, s4, v87
	v_add_f16_e32 v86, v86, v90
	v_mul_f16_e32 v90, 0x3b47, v39
	v_add_f16_e32 v87, v87, v91
	v_mul_f16_e32 v91, 0xb853, v71
	v_add_f16_e32 v88, v88, v92
	v_add_f16_e32 v89, v89, v93
	v_fma_f16 v92, v72, s4, v90
	v_fma_f16 v90, v72, s4, -v90
	v_fma_f16 v93, v38, s6, -v91
	v_fma_f16 v91, v38, s6, v91
	v_mul_f16_e32 v71, 0xba0c, v71
	v_add_f16_e32 v90, v90, v94
	v_mul_f16_e32 v94, 0xb853, v39
	v_add_f16_e32 v91, v91, v95
	v_fma_f16 v95, v38, s7, -v71
	v_mul_f16_e32 v39, 0xba0c, v39
	v_fma_f16 v38, v38, s7, v71
	v_add_f16_e32 v34, v38, v34
	v_fma_f16 v38, v72, s7, -v39
	v_add_f16_e32 v33, v38, v33
	v_add_f16_e32 v38, v40, v43
	v_sub_f16_e32 v40, v40, v43
	v_sub_f16_e32 v43, v79, v82
	v_mul_f16_e32 v71, 0xba0c, v43
	v_add_f16_e32 v92, v92, v96
	v_add_f16_e32 v93, v93, v97
	v_fma_f16 v96, v72, s6, v94
	v_fma_f16 v94, v72, s6, -v94
	v_fma_f16 v97, v72, s7, v39
	v_fma_f16 v72, v38, s7, -v71
	v_add_f16_e32 v39, v79, v82
	v_add_f16_e32 v72, v72, v73
	v_mul_f16_e32 v73, 0xba0c, v40
	v_fma_f16 v71, v38, s7, v71
	v_fma_f16 v79, v39, s7, v73
	v_add_f16_e32 v71, v71, v75
	v_fma_f16 v73, v39, s7, -v73
	v_mul_f16_e32 v75, 0x3beb, v43
	v_add_f16_e32 v73, v73, v77
	v_fma_f16 v77, v38, s5, -v75
	v_mul_f16_e32 v82, 0x3beb, v40
	v_fma_f16 v75, v38, s5, v75
	v_add_f16_e32 v79, v79, v83
	v_fma_f16 v83, v39, s5, v82
	v_add_f16_e32 v75, v75, v78
	v_fma_f16 v78, v39, s5, -v82
	v_mul_f16_e32 v82, 0xb853, v43
	v_add_f16_e32 v77, v77, v84
	v_fma_f16 v84, v38, s6, -v82
	v_fma_f16 v82, v38, s6, v82
	v_add_f16_e32 v78, v78, v86
	v_mul_f16_e32 v86, 0xb853, v40
	v_add_f16_e32 v82, v82, v87
	v_mul_f16_e32 v87, 0xb482, v43
	v_add_f16_e32 v83, v83, v88
	v_add_f16_e32 v84, v84, v89
	v_fma_f16 v88, v39, s6, v86
	v_fma_f16 v86, v39, s6, -v86
	v_fma_f16 v89, v38, s14, -v87
	v_fma_f16 v87, v38, s14, v87
	v_mul_f16_e32 v43, 0x3b47, v43
	v_add_f16_e32 v86, v86, v90
	v_mul_f16_e32 v90, 0xb482, v40
	v_add_f16_e32 v87, v87, v91
	v_fma_f16 v91, v38, s4, -v43
	v_mul_f16_e32 v40, 0x3b47, v40
	v_fma_f16 v38, v38, s4, v43
	v_add_f16_e32 v34, v38, v34
	v_fma_f16 v38, v39, s4, -v40
	v_add_f16_e32 v89, v89, v93
	v_fma_f16 v93, v39, s4, v40
	v_add_f16_e32 v33, v38, v33
	v_add_f16_e32 v38, v41, v42
	v_sub_f16_e32 v40, v41, v42
	v_sub_f16_e32 v41, v80, v81
	v_mul_f16_e32 v42, 0xb482, v41
	v_fma_f16 v43, v38, s14, -v42
	v_add_f16_e32 v88, v88, v92
	v_fma_f16 v92, v39, s14, v90
	v_fma_f16 v90, v39, s14, -v90
	v_add_f16_e32 v39, v80, v81
	v_add_f16_e32 v80, v43, v72
	v_mul_f16_e32 v43, 0xb482, v40
	v_fma_f16 v42, v38, s14, v42
	v_fma_f16 v72, v39, s14, v43
	v_add_f16_e32 v71, v42, v71
	v_fma_f16 v42, v39, s14, -v43
	v_add_f16_e32 v79, v72, v79
	v_add_f16_e32 v72, v42, v73
	v_mul_f16_e32 v42, 0x3853, v41
	v_fma_f16 v43, v38, s6, -v42
	v_mul_f16_e32 v73, 0x3853, v40
	v_add_f16_e32 v77, v43, v77
	v_fma_f16 v43, v39, s6, v73
	v_fma_f16 v42, v38, s6, v42
	v_add_f16_e32 v81, v43, v83
	v_add_f16_e32 v43, v42, v75
	v_fma_f16 v42, v39, s6, -v73
	v_add_f16_e32 v73, v42, v78
	v_mul_f16_e32 v42, 0xba0c, v41
	v_fma_f16 v75, v38, s7, -v42
	v_fma_f16 v42, v38, s7, v42
	v_mul_f16_e32 v78, 0xba0c, v40
	v_add_f16_e32 v42, v42, v82
	v_mul_f16_e32 v82, 0x3b47, v41
	v_add_f16_e32 v75, v75, v84
	v_fma_f16 v83, v39, s7, v78
	v_fma_f16 v78, v39, s7, -v78
	v_fma_f16 v84, v38, s4, -v82
	v_fma_f16 v82, v38, s4, v82
	v_mul_f16_e32 v41, 0xbbeb, v41
	v_add_f16_e32 v94, v94, v98
	v_add_f16_e32 v78, v78, v86
	v_mul_f16_e32 v86, 0x3b47, v40
	v_add_f16_e32 v82, v82, v87
	v_fma_f16 v87, v38, s5, -v41
	v_mul_f16_e32 v40, 0xbbeb, v40
	v_fma_f16 v38, v38, s5, v41
	v_add_f16_e32 v90, v90, v94
	v_add_f16_e32 v83, v83, v88
	v_fma_f16 v88, v39, s4, v86
	v_fma_f16 v86, v39, s4, -v86
	v_add_f16_e32 v34, v38, v34
	v_fma_f16 v38, v39, s5, -v40
	v_add_f16_e32 v84, v84, v89
	v_add_f16_e32 v86, v86, v90
	v_fma_f16 v89, v39, s5, v40
	v_add_f16_e32 v33, v38, v33
	v_pack_b32_f16 v38, v85, v76
	v_pack_b32_f16 v39, v80, v79
	v_add_f16_e32 v100, v100, v102
	v_add_f16_e32 v99, v99, v103
	;; [unrolled: 1-line block ×3, first 2 shown]
	ds_write2_b32 v45, v38, v39 offset1:117
	v_pack_b32_f16 v38, v77, v81
	v_pack_b32_f16 v39, v75, v83
	;; [unrolled: 1-line block ×4, first 2 shown]
	v_add_f16_e32 v96, v96, v100
	v_add_f16_e32 v95, v95, v99
	;; [unrolled: 1-line block ×3, first 2 shown]
	ds_write2_b32 v44, v38, v39 offset0:106 offset1:223
	ds_write2_b32 v36, v33, v34 offset0:62 offset1:179
	v_pack_b32_f16 v33, v42, v78
	v_pack_b32_f16 v34, v43, v73
	v_add_f16_e32 v92, v92, v96
	v_add_f16_e32 v91, v91, v95
	;; [unrolled: 1-line block ×3, first 2 shown]
	ds_write2_b32 v35, v33, v34 offset0:40 offset1:157
	v_pack_b32_f16 v33, v71, v72
	s_movk_i32 s4, 0x1000
	v_add_f16_e32 v88, v88, v92
	v_add_f16_e32 v87, v87, v91
	;; [unrolled: 1-line block ×3, first 2 shown]
	ds_write_b32 v45, v33 offset:4680
	v_add_co_u32_e32 v33, vcc, s4, v20
	v_pack_b32_f16 v38, v84, v88
	v_pack_b32_f16 v39, v87, v89
	v_addc_co_u32_e32 v34, vcc, 0, v74, vcc
	ds_write2_b32 v37, v38, v39 offset0:84 offset1:201
	s_waitcnt lgkmcnt(0)
	s_barrier
	global_load_dword v40, v[33:34], off offset:1052
	s_movk_i32 s4, 0x141c
	v_add_co_u32_e32 v33, vcc, s4, v20
	v_addc_co_u32_e32 v34, vcc, 0, v74, vcc
	global_load_dword v42, v[33:34], off offset:1716
	global_load_dword v44, v[33:34], off offset:3432
	;; [unrolled: 1-line block ×7, first 2 shown]
	v_add_co_u32_e32 v38, vcc, 0x2000, v20
	v_addc_co_u32_e32 v39, vcc, 0, v74, vcc
	global_load_dword v83, v[38:39], off offset:1324
	ds_read2_b32 v[38:39], v45 offset1:117
	s_waitcnt lgkmcnt(0)
	v_lshrrev_b32_e32 v41, 16, v38
	s_waitcnt vmcnt(8)
	v_mul_f16_sdwa v74, v41, v40 dst_sel:DWORD dst_unused:UNUSED_PAD src0_sel:DWORD src1_sel:WORD_1
	v_fma_f16 v74, v38, v40, -v74
	v_mul_f16_sdwa v38, v38, v40 dst_sel:DWORD dst_unused:UNUSED_PAD src0_sel:DWORD src1_sel:WORD_1
	v_fma_f16 v38, v41, v40, v38
	v_pack_b32_f16 v38, v74, v38
	ds_write_b32 v45, v38
	v_add_u32_e32 v38, 0x300, v45
	ds_read2_b32 v[74:75], v38 offset0:42 offset1:237
	v_add_u32_e32 v41, 0xc00, v45
	ds_read2_b32 v[76:77], v41 offset0:90 offset1:207
	s_waitcnt lgkmcnt(1)
	v_lshrrev_b32_e32 v40, 16, v75
	s_waitcnt vmcnt(7)
	v_mul_f16_sdwa v84, v40, v42 dst_sel:DWORD dst_unused:UNUSED_PAD src0_sel:DWORD src1_sel:WORD_1
	v_fma_f16 v84, v75, v42, -v84
	v_mul_f16_sdwa v75, v75, v42 dst_sel:DWORD dst_unused:UNUSED_PAD src0_sel:DWORD src1_sel:WORD_1
	v_fma_f16 v40, v40, v42, v75
	s_waitcnt lgkmcnt(0)
	v_lshrrev_b32_e32 v42, 16, v76
	s_waitcnt vmcnt(6)
	v_mul_f16_sdwa v75, v42, v44 dst_sel:DWORD dst_unused:UNUSED_PAD src0_sel:DWORD src1_sel:WORD_1
	v_fma_f16 v75, v76, v44, -v75
	v_mul_f16_sdwa v76, v76, v44 dst_sel:DWORD dst_unused:UNUSED_PAD src0_sel:DWORD src1_sel:WORD_1
	v_fma_f16 v42, v42, v44, v76
	v_add_u32_e32 v44, 0x800, v45
	v_pack_b32_f16 v42, v75, v42
	ds_read2_b32 v[75:76], v44 offset0:34 offset1:151
	v_pack_b32_f16 v40, v84, v40
	v_lshrrev_b32_e32 v84, 16, v39
	s_waitcnt vmcnt(5)
	v_mul_f16_sdwa v85, v84, v78 dst_sel:DWORD dst_unused:UNUSED_PAD src0_sel:DWORD src1_sel:WORD_1
	v_fma_f16 v85, v39, v78, -v85
	v_mul_f16_sdwa v39, v39, v78 dst_sel:DWORD dst_unused:UNUSED_PAD src0_sel:DWORD src1_sel:WORD_1
	v_fma_f16 v39, v84, v78, v39
	s_waitcnt lgkmcnt(0)
	v_lshrrev_b32_e32 v78, 16, v75
	s_waitcnt vmcnt(4)
	v_mul_f16_sdwa v84, v78, v79 dst_sel:DWORD dst_unused:UNUSED_PAD src0_sel:DWORD src1_sel:WORD_1
	v_fma_f16 v84, v75, v79, -v84
	v_mul_f16_sdwa v75, v75, v79 dst_sel:DWORD dst_unused:UNUSED_PAD src0_sel:DWORD src1_sel:WORD_1
	v_fma_f16 v75, v78, v79, v75
	v_pack_b32_f16 v75, v84, v75
	ds_write2_b32 v37, v40, v75 offset0:45 offset1:162
	v_lshrrev_b32_e32 v37, 16, v77
	s_waitcnt vmcnt(3)
	v_mul_f16_sdwa v40, v37, v80 dst_sel:DWORD dst_unused:UNUSED_PAD src0_sel:DWORD src1_sel:WORD_1
	v_mul_f16_sdwa v75, v77, v80 dst_sel:DWORD dst_unused:UNUSED_PAD src0_sel:DWORD src1_sel:WORD_1
	v_fma_f16 v40, v77, v80, -v40
	v_fma_f16 v37, v37, v80, v75
	v_pack_b32_f16 v37, v40, v37
	v_lshrrev_b32_e32 v40, 16, v74
	s_waitcnt vmcnt(1)
	v_mul_f16_sdwa v75, v40, v82 dst_sel:DWORD dst_unused:UNUSED_PAD src0_sel:DWORD src1_sel:WORD_1
	v_fma_f16 v75, v74, v82, -v75
	v_mul_f16_sdwa v74, v74, v82 dst_sel:DWORD dst_unused:UNUSED_PAD src0_sel:DWORD src1_sel:WORD_1
	v_fma_f16 v40, v40, v82, v74
	v_pack_b32_f16 v39, v85, v39
	v_pack_b32_f16 v40, v75, v40
	ds_read_b32 v74, v45 offset:4368
	ds_write2_b32 v45, v39, v40 offset0:117 offset1:234
	v_lshrrev_b32_e32 v39, 16, v76
	v_mul_f16_sdwa v40, v39, v81 dst_sel:DWORD dst_unused:UNUSED_PAD src0_sel:DWORD src1_sel:WORD_1
	v_mul_f16_sdwa v75, v76, v81 dst_sel:DWORD dst_unused:UNUSED_PAD src0_sel:DWORD src1_sel:WORD_1
	v_fma_f16 v40, v76, v81, -v40
	v_fma_f16 v39, v39, v81, v75
	v_pack_b32_f16 v39, v40, v39
	ds_write2_b32 v36, v39, v42 offset0:23 offset1:218
	s_waitcnt lgkmcnt(2)
	v_lshrrev_b32_e32 v36, 16, v74
	s_waitcnt vmcnt(0)
	v_mul_f16_sdwa v39, v36, v83 dst_sel:DWORD dst_unused:UNUSED_PAD src0_sel:DWORD src1_sel:WORD_1
	v_mul_f16_sdwa v40, v74, v83 dst_sel:DWORD dst_unused:UNUSED_PAD src0_sel:DWORD src1_sel:WORD_1
	v_fma_f16 v39, v74, v83, -v39
	v_fma_f16 v36, v36, v83, v40
	v_pack_b32_f16 v36, v39, v36
	ds_write2_b32 v35, v37, v36 offset0:79 offset1:196
	s_and_saveexec_b64 s[4:5], s[0:1]
	s_cbranch_execz .LBB0_17
; %bb.16:
	global_load_dword v35, v[33:34], off offset:1404
	global_load_dword v36, v[33:34], off offset:3120
	v_add_co_u32_e32 v33, vcc, 0x1000, v33
	v_addc_co_u32_e32 v34, vcc, 0, v34, vcc
	global_load_dword v33, v[33:34], off offset:740
	ds_read_b32 v34, v45 offset:1404
	ds_read_b32 v37, v45 offset:3120
	;; [unrolled: 1-line block ×3, first 2 shown]
	s_waitcnt lgkmcnt(2)
	v_lshrrev_b32_e32 v40, 16, v34
	s_waitcnt lgkmcnt(1)
	v_lshrrev_b32_e32 v42, 16, v37
	;; [unrolled: 2-line block ×3, first 2 shown]
	s_waitcnt vmcnt(2)
	v_mul_f16_sdwa v75, v40, v35 dst_sel:DWORD dst_unused:UNUSED_PAD src0_sel:DWORD src1_sel:WORD_1
	v_mul_f16_sdwa v76, v34, v35 dst_sel:DWORD dst_unused:UNUSED_PAD src0_sel:DWORD src1_sel:WORD_1
	s_waitcnt vmcnt(1)
	v_mul_f16_sdwa v77, v42, v36 dst_sel:DWORD dst_unused:UNUSED_PAD src0_sel:DWORD src1_sel:WORD_1
	v_mul_f16_sdwa v78, v37, v36 dst_sel:DWORD dst_unused:UNUSED_PAD src0_sel:DWORD src1_sel:WORD_1
	v_fma_f16 v34, v34, v35, -v75
	v_fma_f16 v35, v40, v35, v76
	v_fma_f16 v37, v37, v36, -v77
	v_fma_f16 v36, v42, v36, v78
	v_pack_b32_f16 v34, v34, v35
	v_pack_b32_f16 v35, v37, v36
	s_waitcnt vmcnt(0)
	v_mul_f16_sdwa v36, v74, v33 dst_sel:DWORD dst_unused:UNUSED_PAD src0_sel:DWORD src1_sel:WORD_1
	v_mul_f16_sdwa v37, v39, v33 dst_sel:DWORD dst_unused:UNUSED_PAD src0_sel:DWORD src1_sel:WORD_1
	ds_write_b32 v45, v34 offset:1404
	ds_write_b32 v45, v35 offset:3120
	v_fma_f16 v34, v39, v33, -v36
	v_fma_f16 v33, v74, v33, v37
	v_pack_b32_f16 v33, v34, v33
	ds_write_b32 v45, v33 offset:4836
.LBB0_17:
	s_or_b64 exec, exec, s[4:5]
	s_waitcnt lgkmcnt(0)
	s_barrier
	ds_read2_b32 v[39:40], v45 offset1:117
	ds_read2_b32 v[35:36], v38 offset0:42 offset1:237
	ds_read2_b32 v[41:42], v41 offset0:90 offset1:207
	;; [unrolled: 1-line block ×3, first 2 shown]
	ds_read_b32 v44, v45 offset:4368
	s_and_saveexec_b64 s[4:5], s[0:1]
	s_cbranch_execz .LBB0_19
; %bb.18:
	ds_read_b32 v43, v45 offset:1404
	ds_read_b32 v71, v45 offset:3120
	;; [unrolled: 1-line block ×3, first 2 shown]
	s_waitcnt lgkmcnt(2)
	v_lshrrev_b32_e32 v73, 16, v43
	s_waitcnt lgkmcnt(1)
	v_lshrrev_b32_e32 v72, 16, v71
	;; [unrolled: 2-line block ×3, first 2 shown]
.LBB0_19:
	s_or_b64 exec, exec, s[4:5]
	s_waitcnt lgkmcnt(2)
	v_pk_add_f16 v34, v36, v41
	v_pk_add_f16 v33, v39, v36
	v_pk_fma_f16 v74, v34, 0.5, v39 op_sel_hi:[1,0,1] neg_lo:[1,0,0] neg_hi:[1,0,0]
	s_waitcnt lgkmcnt(1)
	v_pk_add_f16 v39, v37, v42
	v_pk_add_f16 v34, v36, v41 neg_lo:[0,1] neg_hi:[0,1]
	v_pk_add_f16 v36, v40, v37
	v_pk_fma_f16 v75, v39, 0.5, v40 op_sel_hi:[1,0,1] neg_lo:[1,0,0] neg_hi:[1,0,0]
	s_waitcnt lgkmcnt(0)
	v_pk_add_f16 v40, v38, v44
	s_movk_i32 s4, 0x3aee
	v_pk_add_f16 v39, v35, v38
	v_pk_fma_f16 v80, v40, 0.5, v35 op_sel_hi:[1,0,1] neg_lo:[1,0,0] neg_hi:[1,0,0]
	v_pk_add_f16 v35, v38, v44 neg_lo:[0,1] neg_hi:[0,1]
	v_pk_mul_f16 v81, v35, s4 op_sel_hi:[1,0]
	v_add_f16_e32 v35, v43, v71
	v_pk_add_f16 v36, v36, v42
	v_pk_add_f16 v37, v37, v42 neg_lo:[0,1] neg_hi:[0,1]
	v_add_f16_e32 v42, v35, v69
	v_add_f16_e32 v35, v71, v69
	v_fma_f16 v35, v35, -0.5, v43
	v_sub_f16_e32 v38, v72, v70
	s_mov_b32 s5, 0xbaee
	v_pk_add_f16 v39, v39, v44
	v_fma_f16 v43, v38, s5, v35
	v_fma_f16 v44, v38, s4, v35
	v_add_f16_e32 v35, v73, v72
	v_add_f16_e32 v76, v35, v70
	;; [unrolled: 1-line block ×3, first 2 shown]
	v_pk_add_f16 v33, v33, v41
	v_pk_mul_f16 v41, v34, s4 op_sel_hi:[1,0]
	v_fma_f16 v35, v35, -0.5, v73
	v_sub_f16_e32 v38, v71, v69
	v_pk_add_f16 v34, v74, v41 op_sel:[0,1] op_sel_hi:[1,0] neg_lo:[0,1] neg_hi:[0,1]
	v_pk_mul_f16 v79, v37, s4 op_sel_hi:[1,0]
	v_fma_f16 v77, v38, s4, v35
	v_fma_f16 v78, v38, s5, v35
	v_pk_add_f16 v35, v74, v41 op_sel:[0,1] op_sel_hi:[1,0]
	s_mov_b32 s4, 0xffff
	v_bfi_b32 v38, s4, v35, v34
	v_bfi_b32 v41, s4, v34, v35
	v_pk_add_f16 v37, v75, v79 op_sel:[0,1] op_sel_hi:[1,0] neg_lo:[0,1] neg_hi:[0,1]
	s_barrier
	ds_write_b32 v58, v33
	ds_write2_b32 v58, v41, v38 offset0:1 offset1:2
	ds_write_b32 v60, v36
	v_pk_add_f16 v38, v75, v79 op_sel:[0,1] op_sel_hi:[1,0]
	v_bfi_b32 v41, s4, v38, v37
	v_bfi_b32 v58, s4, v37, v38
	v_pk_add_f16 v40, v80, v81 op_sel:[0,1] op_sel_hi:[1,0] neg_lo:[0,1] neg_hi:[0,1]
	ds_write2_b32 v60, v58, v41 offset0:1 offset1:2
	ds_write_b32 v61, v39
	v_pk_add_f16 v41, v80, v81 op_sel:[0,1] op_sel_hi:[1,0]
	v_bfi_b32 v58, s4, v41, v40
	v_bfi_b32 v60, s4, v40, v41
	ds_write2_b32 v61, v60, v58 offset0:1 offset1:2
	s_and_saveexec_b64 s[4:5], s[0:1]
	s_cbranch_execz .LBB0_21
; %bb.20:
	s_mov_b32 s6, 0x5040100
	v_lshlrev_b32_e32 v58, 2, v59
	v_perm_b32 v59, v77, v43, s6
	v_perm_b32 v60, v76, v42, s6
	ds_write2_b32 v58, v60, v59 offset1:1
	v_perm_b32 v59, v78, v44, s6
	ds_write_b32 v58, v59 offset:8
.LBB0_21:
	s_or_b64 exec, exec, s[4:5]
	v_lshrrev_b32_e32 v59, 16, v34
	v_lshrrev_b32_e32 v72, 16, v37
	;; [unrolled: 1-line block ×6, first 2 shown]
	s_waitcnt lgkmcnt(0)
	s_barrier
	s_and_saveexec_b64 s[4:5], s[2:3]
	s_cbranch_execz .LBB0_23
; %bb.22:
	v_add_u32_e32 v35, 0x200, v45
	v_add_u32_e32 v37, 0x400, v45
	;; [unrolled: 1-line block ×5, first 2 shown]
	ds_read2_b32 v[33:34], v45 offset1:99
	ds_read2_b32 v[35:36], v35 offset0:70 offset1:169
	ds_read2_b32 v[37:38], v37 offset0:140 offset1:239
	;; [unrolled: 1-line block ×5, first 2 shown]
	ds_read_b32 v67, v45 offset:4752
	s_waitcnt lgkmcnt(6)
	v_lshrrev_b32_e32 v58, 16, v34
	s_waitcnt lgkmcnt(5)
	v_lshrrev_b32_e32 v59, 16, v35
	;; [unrolled: 2-line block ×3, first 2 shown]
	v_lshrrev_b32_e32 v72, 16, v38
	s_waitcnt lgkmcnt(3)
	v_lshrrev_b32_e32 v74, 16, v40
	s_waitcnt lgkmcnt(2)
	v_lshrrev_b32_e32 v75, 16, v41
	v_lshrrev_b32_e32 v76, 16, v42
	s_waitcnt lgkmcnt(1)
	v_lshrrev_b32_e32 v77, 16, v43
	;; [unrolled: 3-line block ×3, first 2 shown]
.LBB0_23:
	s_or_b64 exec, exec, s[4:5]
	v_mul_f16_sdwa v60, v0, v58 dst_sel:DWORD dst_unused:UNUSED_PAD src0_sel:WORD_1 src1_sel:DWORD
	v_fma_f16 v60, v0, v34, v60
	v_mul_f16_sdwa v34, v0, v34 dst_sel:DWORD dst_unused:UNUSED_PAD src0_sel:WORD_1 src1_sel:DWORD
	v_fma_f16 v58, v0, v58, -v34
	v_mul_f16_sdwa v0, v1, v59 dst_sel:DWORD dst_unused:UNUSED_PAD src0_sel:WORD_1 src1_sel:DWORD
	v_fma_f16 v61, v1, v35, v0
	v_mul_f16_sdwa v0, v1, v35 dst_sel:DWORD dst_unused:UNUSED_PAD src0_sel:WORD_1 src1_sel:DWORD
	v_fma_f16 v59, v1, v59, -v0
	v_lshrrev_b32_e32 v0, 16, v36
	v_mul_f16_sdwa v1, v2, v0 dst_sel:DWORD dst_unused:UNUSED_PAD src0_sel:WORD_1 src1_sel:DWORD
	v_fma_f16 v69, v2, v36, v1
	v_mul_f16_sdwa v1, v2, v36 dst_sel:DWORD dst_unused:UNUSED_PAD src0_sel:WORD_1 src1_sel:DWORD
	v_fma_f16 v36, v2, v0, -v1
	v_mul_f16_sdwa v0, v3, v71 dst_sel:DWORD dst_unused:UNUSED_PAD src0_sel:WORD_1 src1_sel:DWORD
	v_fma_f16 v70, v3, v37, v0
	v_mul_f16_sdwa v0, v3, v37 dst_sel:DWORD dst_unused:UNUSED_PAD src0_sel:WORD_1 src1_sel:DWORD
	v_fma_f16 v3, v3, v71, -v0
	;; [unrolled: 4-line block ×3, first 2 shown]
	v_lshrrev_b32_e32 v0, 16, v39
	v_mul_f16_sdwa v1, v5, v0 dst_sel:DWORD dst_unused:UNUSED_PAD src0_sel:WORD_1 src1_sel:DWORD
	v_fma_f16 v72, v5, v39, v1
	v_mul_f16_sdwa v1, v5, v39 dst_sel:DWORD dst_unused:UNUSED_PAD src0_sel:WORD_1 src1_sel:DWORD
	v_fma_f16 v37, v5, v0, -v1
	v_mul_f16_sdwa v0, v6, v74 dst_sel:DWORD dst_unused:UNUSED_PAD src0_sel:WORD_1 src1_sel:DWORD
	v_fma_f16 v73, v6, v40, v0
	v_mul_f16_sdwa v0, v6, v40 dst_sel:DWORD dst_unused:UNUSED_PAD src0_sel:WORD_1 src1_sel:DWORD
	v_fma_f16 v6, v6, v74, -v0
	;; [unrolled: 4-line block ×7, first 2 shown]
	v_sub_f16_e32 v79, v58, v42
	v_add_f16_e32 v0, v44, v60
	v_add_f16_e32 v82, v42, v58
	s_movk_i32 s6, 0x388b
	v_mul_f16_e32 v85, 0xba95, v79
	v_sub_f16_e32 v1, v60, v44
	s_mov_b32 s15, 0xba95
	v_mul_f16_e32 v87, 0x388b, v82
	v_fma_f16 v2, v0, s6, -v85
	v_add_f16_e32 v8, v33, v2
	v_fma_f16 v2, v1, s15, v87
	s_movk_i32 s7, 0x2fb7
	v_mul_f16_e32 v91, 0xbbf1, v79
	v_add_f16_sdwa v9, v33, v2 dst_sel:DWORD dst_unused:UNUSED_PAD src0_sel:WORD_1 src1_sel:DWORD
	s_mov_b32 s16, 0xbbf1
	v_mul_f16_e32 v94, 0x2fb7, v82
	v_fma_f16 v2, v0, s7, -v91
	v_add_f16_e32 v10, v33, v2
	v_fma_f16 v2, v1, s16, v94
	s_mov_b32 s14, 0xb5ac
	v_mul_f16_e32 v100, 0xbb7b, v79
	v_add_f16_sdwa v11, v33, v2 dst_sel:DWORD dst_unused:UNUSED_PAD src0_sel:WORD_1 src1_sel:DWORD
	s_mov_b32 s17, 0xbb7b
	v_mul_f16_e32 v104, 0xb5ac, v82
	v_fma_f16 v2, v0, s14, -v100
	v_add_f16_e32 v34, v33, v2
	v_fma_f16 v2, v1, s17, v104
	v_sub_f16_e32 v84, v59, v41
	v_add_f16_sdwa v35, v33, v2 dst_sel:DWORD dst_unused:UNUSED_PAD src0_sel:WORD_1 src1_sel:DWORD
	v_add_f16_e32 v2, v77, v61
	v_add_f16_e32 v86, v41, v59
	v_mul_f16_e32 v89, 0xbb7b, v84
	v_sub_f16_e32 v5, v61, v77
	v_mul_f16_e32 v92, 0xb5ac, v86
	v_fma_f16 v38, v2, s14, -v89
	v_add_f16_e32 v8, v38, v8
	v_fma_f16 v38, v5, s17, v92
	s_mov_b32 s18, 0xbbc4
	v_mul_f16_e32 v97, 0xb3a8, v84
	v_add_f16_e32 v9, v38, v9
	s_mov_b32 s20, 0xb3a8
	v_mul_f16_e32 v101, 0xbbc4, v86
	v_fma_f16 v38, v2, s18, -v97
	v_add_f16_e32 v10, v38, v10
	v_fma_f16 v38, v5, s20, v101
	s_mov_b32 s19, 0xb9fd
	v_mul_f16_e32 v108, 0x394e, v84
	v_add_f16_e32 v11, v38, v11
	s_movk_i32 s26, 0x394e
	v_mul_f16_e32 v112, 0xb9fd, v86
	v_fma_f16 v38, v2, s19, -v108
	v_add_f16_e32 v34, v38, v34
	v_fma_f16 v38, v5, s26, v112
	v_sub_f16_e32 v88, v36, v40
	v_add_f16_e32 v35, v38, v35
	v_add_f16_e32 v38, v76, v69
	;; [unrolled: 1-line block ×3, first 2 shown]
	v_mul_f16_e32 v95, 0xb3a8, v88
	v_sub_f16_e32 v43, v69, v76
	v_mul_f16_e32 v99, 0xbbc4, v90
	v_fma_f16 v67, v38, s18, -v95
	v_add_f16_e32 v8, v67, v8
	v_fma_f16 v67, v43, s20, v99
	v_mul_f16_e32 v106, 0x3b7b, v88
	v_add_f16_e32 v9, v67, v9
	s_movk_i32 s27, 0x3b7b
	v_mul_f16_e32 v109, 0xb5ac, v90
	v_fma_f16 v67, v38, s14, -v106
	v_add_f16_e32 v10, v67, v10
	v_fma_f16 v67, v43, s27, v109
	s_movk_i32 s21, 0x3b15
	v_mul_f16_e32 v115, 0x3770, v88
	v_add_f16_e32 v11, v67, v11
	s_movk_i32 s22, 0x3770
	v_mul_f16_e32 v119, 0x3b15, v90
	v_fma_f16 v67, v38, s21, -v115
	v_add_f16_e32 v34, v67, v34
	v_fma_f16 v67, v43, s22, v119
	v_sub_f16_e32 v93, v3, v39
	v_add_f16_e32 v35, v67, v35
	v_add_f16_e32 v67, v75, v70
	;; [unrolled: 1-line block ×3, first 2 shown]
	v_mul_f16_e32 v102, 0x394e, v93
	v_sub_f16_e32 v68, v70, v75
	v_mul_f16_e32 v107, 0xb9fd, v96
	v_fma_f16 v78, v67, s19, -v102
	v_add_f16_e32 v8, v78, v8
	v_fma_f16 v78, v68, s26, v107
	v_mul_f16_e32 v113, 0x3770, v93
	v_add_f16_e32 v9, v78, v9
	v_mul_f16_e32 v117, 0x3b15, v96
	v_fma_f16 v78, v67, s21, -v113
	v_add_f16_e32 v10, v78, v10
	v_fma_f16 v78, v68, s22, v117
	v_mul_f16_e32 v121, 0xbbf1, v93
	v_add_f16_e32 v11, v78, v11
	v_mul_f16_e32 v123, 0x2fb7, v96
	v_fma_f16 v78, v67, s7, -v121
	v_add_f16_e32 v34, v78, v34
	v_fma_f16 v78, v68, s16, v123
	v_sub_f16_e32 v98, v4, v7
	v_add_f16_e32 v35, v78, v35
	v_add_f16_e32 v78, v74, v71
	;; [unrolled: 1-line block ×3, first 2 shown]
	v_mul_f16_e32 v110, 0x3bf1, v98
	v_sub_f16_e32 v80, v71, v74
	s_movk_i32 s23, 0x3bf1
	v_mul_f16_e32 v114, 0x2fb7, v103
	v_fma_f16 v81, v78, s7, -v110
	v_add_f16_e32 v8, v81, v8
	v_fma_f16 v81, v80, s23, v114
	v_mul_f16_e32 v118, 0xba95, v98
	v_add_f16_e32 v124, v81, v9
	v_mul_f16_e32 v122, 0x388b, v103
	v_fma_f16 v9, v78, s6, -v118
	v_add_f16_e32 v10, v9, v10
	v_fma_f16 v9, v80, s15, v122
	v_mul_f16_e32 v125, 0x33a8, v98
	v_add_f16_e32 v128, v9, v11
	s_movk_i32 s25, 0x33a8
	v_mul_f16_e32 v127, 0xbbc4, v103
	v_fma_f16 v9, v78, s18, -v125
	v_sub_f16_e32 v105, v37, v6
	v_add_f16_e32 v34, v9, v34
	v_fma_f16 v9, v80, s25, v127
	v_add_f16_e32 v81, v73, v72
	v_add_f16_e32 v111, v6, v37
	v_mul_f16_e32 v116, 0x3770, v105
	v_add_f16_e32 v130, v9, v35
	v_sub_f16_e32 v83, v72, v73
	v_mul_f16_e32 v120, 0x3b15, v111
	v_fma_f16 v9, v81, s21, -v116
	v_add_f16_e32 v9, v9, v8
	v_fma_f16 v8, v83, s22, v120
	v_add_f16_e32 v11, v8, v124
	v_mul_f16_e32 v124, 0xb94e, v105
	s_mov_b32 s24, 0xb94e
	v_mul_f16_e32 v126, 0xb9fd, v111
	v_fma_f16 v8, v81, s19, -v124
	v_add_f16_e32 v10, v8, v10
	v_fma_f16 v8, v83, s24, v126
	v_add_f16_e32 v35, v8, v128
	v_mul_f16_e32 v128, 0x3a95, v105
	s_movk_i32 s28, 0x3a95
	v_mul_f16_e32 v129, 0x388b, v111
	v_fma_f16 v8, v81, s6, -v128
	v_add_f16_e32 v8, v8, v34
	v_fma_f16 v34, v83, s28, v129
	v_add_f16_e32 v34, v34, v130
	s_barrier
	s_and_saveexec_b64 s[4:5], s[2:3]
	s_cbranch_execz .LBB0_25
; %bb.24:
	v_mul_f16_e32 v166, 0xbbc4, v82
	v_fma_f16 v167, v1, s25, v166
	v_mul_f16_e32 v168, 0x3b15, v86
	s_mov_b32 s2, 0xb770
	v_add_f16_sdwa v167, v33, v167 dst_sel:DWORD dst_unused:UNUSED_PAD src0_sel:WORD_1 src1_sel:DWORD
	v_fma_f16 v169, v5, s2, v168
	v_add_f16_e32 v167, v169, v167
	v_mul_f16_e32 v169, 0xb9fd, v90
	v_fma_f16 v170, v43, s26, v169
	v_add_f16_e32 v167, v170, v167
	v_mul_f16_e32 v170, 0x388b, v96
	;; [unrolled: 3-line block ×5, first 2 shown]
	v_fma_f16 v174, v0, s18, v173
	v_mul_f16_e32 v175, 0x3770, v84
	v_add_f16_e32 v174, v33, v174
	v_fma_f16 v176, v2, s21, v175
	v_add_f16_e32 v174, v176, v174
	v_mul_f16_e32 v176, 0xb94e, v88
	v_fma_f16 v177, v38, s19, v176
	v_add_f16_e32 v174, v177, v174
	v_mul_f16_e32 v177, 0x3a95, v93
	v_add_f16_sdwa v58, v58, v33 dst_sel:DWORD dst_unused:UNUSED_PAD src0_sel:DWORD src1_sel:WORD_1
	v_fma_f16 v178, v67, s6, v177
	v_add_f16_e32 v58, v59, v58
	v_add_f16_e32 v174, v178, v174
	v_mul_f16_e32 v178, 0xbb7b, v98
	v_add_f16_e32 v36, v36, v58
	v_fma_f16 v179, v78, s14, v178
	v_add_f16_e32 v3, v3, v36
	v_add_f16_e32 v174, v179, v174
	v_mul_f16_e32 v179, 0x3bf1, v105
	v_add_f16_e32 v3, v4, v3
	v_mul_f16_e32 v130, 0x388b, v0
	v_fma_f16 v180, v81, s7, v179
	v_add_f16_e32 v3, v37, v3
	v_fma_f16 v4, v1, s20, v166
	v_mul_f16_e32 v131, 0xba95, v1
	v_mul_f16_e32 v136, 0xb5ac, v2
	v_add_f16_e32 v174, v180, v174
	v_mul_f16_e32 v180, 0xb9fd, v82
	v_add_f16_e32 v85, v130, v85
	v_add_f16_e32 v3, v6, v3
	v_add_f16_sdwa v4, v33, v4 dst_sel:DWORD dst_unused:UNUSED_PAD src0_sel:WORD_1 src1_sel:DWORD
	v_fma_f16 v6, v5, s22, v168
	v_mul_f16_e32 v137, 0xbb7b, v5
	v_mul_f16_e32 v142, 0xbbc4, v38
	v_fma_f16 v181, v1, s26, v180
	v_mul_f16_e32 v182, 0x2fb7, v86
	v_sub_f16_e32 v87, v87, v131
	v_add_f16_e32 v85, v33, v85
	v_add_f16_e32 v89, v136, v89
	v_add_f16_e32 v4, v6, v4
	v_fma_f16 v6, v43, s24, v169
	v_mul_f16_e32 v143, 0xb3a8, v43
	v_mul_f16_e32 v148, 0xb9fd, v67
	v_add_f16_sdwa v181, v33, v181 dst_sel:DWORD dst_unused:UNUSED_PAD src0_sel:WORD_1 src1_sel:DWORD
	v_fma_f16 v183, v5, s16, v182
	v_add_f16_sdwa v87, v33, v87 dst_sel:DWORD dst_unused:UNUSED_PAD src0_sel:WORD_1 src1_sel:DWORD
	v_sub_f16_e32 v92, v92, v137
	v_add_f16_e32 v85, v89, v85
	v_add_f16_e32 v89, v142, v95
	;; [unrolled: 1-line block ×3, first 2 shown]
	v_fma_f16 v6, v68, s28, v170
	v_mul_f16_e32 v149, 0x394e, v68
	v_mul_f16_e32 v154, 0x2fb7, v78
	v_add_f16_e32 v181, v183, v181
	v_mul_f16_e32 v183, 0x388b, v90
	v_add_f16_e32 v87, v92, v87
	v_sub_f16_e32 v92, v99, v143
	v_add_f16_e32 v85, v89, v85
	v_add_f16_e32 v89, v148, v102
	;; [unrolled: 1-line block ×3, first 2 shown]
	v_fma_f16 v6, v80, s17, v171
	v_mul_f16_e32 v155, 0x3bf1, v80
	v_mul_f16_e32 v160, 0x3b15, v81
	v_fma_f16 v184, v43, s28, v183
	v_add_f16_e32 v87, v92, v87
	v_sub_f16_e32 v92, v107, v149
	v_add_f16_e32 v85, v89, v85
	v_add_f16_e32 v89, v154, v110
	v_add_f16_e32 v4, v6, v4
	v_fma_f16 v6, v83, s23, v172
	v_mul_f16_e32 v161, 0x3770, v83
	v_add_f16_e32 v181, v184, v181
	v_mul_f16_e32 v184, 0xbbc4, v96
	v_add_f16_e32 v87, v92, v87
	v_sub_f16_e32 v92, v114, v155
	v_add_f16_e32 v85, v89, v85
	v_add_f16_e32 v89, v160, v116
	v_mul_f16_e32 v82, 0x3b15, v82
	v_add_f16_e32 v4, v6, v4
	v_fma_f16 v6, v0, s18, -v173
	v_fma_f16 v185, v68, s20, v184
	v_add_f16_e32 v87, v92, v87
	v_sub_f16_e32 v92, v120, v161
	v_add_f16_e32 v85, v89, v85
	v_fma_f16 v89, v1, s22, v82
	v_mul_f16_e32 v86, 0x388b, v86
	v_add_f16_e32 v3, v7, v3
	v_add_f16_e32 v6, v33, v6
	v_fma_f16 v7, v2, s21, -v175
	v_mul_f16_e32 v132, 0x2fb7, v0
	v_add_f16_e32 v181, v185, v181
	v_mul_f16_e32 v185, 0x3b15, v103
	v_add_f16_e32 v87, v92, v87
	v_add_f16_sdwa v89, v33, v89 dst_sel:DWORD dst_unused:UNUSED_PAD src0_sel:WORD_1 src1_sel:DWORD
	v_fma_f16 v92, v5, s28, v86
	v_mul_f16_e32 v90, 0x2fb7, v90
	v_add_f16_e32 v6, v7, v6
	v_fma_f16 v7, v38, s19, -v176
	v_mul_f16_e32 v138, 0xbbc4, v2
	v_fma_f16 v186, v80, s2, v185
	v_add_f16_e32 v91, v132, v91
	v_add_f16_e32 v89, v92, v89
	v_fma_f16 v92, v43, s23, v90
	v_add_f16_e32 v6, v7, v6
	v_fma_f16 v7, v67, s6, -v177
	v_mul_f16_e32 v144, 0xb5ac, v38
	v_add_f16_e32 v181, v186, v181
	v_mul_f16_e32 v186, 0xb5ac, v111
	v_add_f16_e32 v91, v33, v91
	v_add_f16_e32 v97, v138, v97
	;; [unrolled: 1-line block ×3, first 2 shown]
	v_mul_f16_e32 v92, 0xb5ac, v96
	v_add_f16_e32 v6, v7, v6
	v_fma_f16 v7, v78, s14, -v178
	v_mul_f16_e32 v150, 0x3b15, v67
	v_fma_f16 v187, v83, s27, v186
	v_add_f16_e32 v91, v97, v91
	v_add_f16_e32 v97, v144, v106
	v_fma_f16 v95, v68, s27, v92
	v_add_f16_e32 v6, v7, v6
	v_fma_f16 v7, v81, s7, -v179
	v_mul_f16_e32 v156, 0x388b, v78
	v_add_f16_e32 v181, v187, v181
	v_mul_f16_e32 v187, 0xb94e, v79
	v_add_f16_e32 v91, v97, v91
	v_add_f16_e32 v97, v150, v113
	v_add_f16_e32 v89, v95, v89
	v_mul_f16_e32 v95, 0xb9fd, v103
	v_add_f16_e32 v60, v33, v60
	v_add_f16_e32 v6, v7, v6
	v_fma_f16 v7, v1, s24, v180
	v_mul_f16_e32 v162, 0xb9fd, v81
	v_fma_f16 v188, v0, s19, v187
	v_mul_f16_e32 v189, 0x3bf1, v84
	v_add_f16_e32 v91, v97, v91
	v_add_f16_e32 v97, v156, v118
	v_fma_f16 v96, v80, s26, v95
	v_add_f16_e32 v60, v61, v60
	v_add_f16_sdwa v7, v33, v7 dst_sel:DWORD dst_unused:UNUSED_PAD src0_sel:WORD_1 src1_sel:DWORD
	v_fma_f16 v36, v5, s23, v182
	v_add_f16_e32 v188, v33, v188
	v_fma_f16 v190, v2, s7, v189
	v_add_f16_e32 v91, v97, v91
	v_add_f16_e32 v97, v162, v124
	;; [unrolled: 1-line block ×3, first 2 shown]
	v_mul_f16_e32 v96, 0xbbc4, v111
	v_add_f16_e32 v60, v69, v60
	v_add_f16_e32 v7, v36, v7
	v_fma_f16 v36, v43, s15, v183
	v_mul_f16_e32 v133, 0xbbf1, v1
	v_add_f16_e32 v188, v190, v188
	v_mul_f16_e32 v190, 0xba95, v88
	v_add_f16_e32 v91, v97, v91
	v_fma_f16 v97, v83, s25, v96
	v_mul_f16_e32 v79, 0xb770, v79
	v_add_f16_e32 v60, v70, v60
	v_add_f16_e32 v7, v36, v7
	v_fma_f16 v36, v68, s25, v184
	v_mul_f16_e32 v139, 0xb3a8, v5
	v_fma_f16 v191, v38, s6, v190
	v_sub_f16_e32 v94, v94, v133
	v_add_f16_e32 v89, v97, v89
	v_fma_f16 v97, v0, s21, v79
	v_mul_f16_e32 v84, 0xba95, v84
	v_add_f16_e32 v60, v71, v60
	v_add_f16_e32 v7, v36, v7
	v_fma_f16 v36, v80, s22, v185
	v_mul_f16_e32 v145, 0x3b7b, v43
	v_add_f16_e32 v188, v191, v188
	v_mul_f16_e32 v191, 0x33a8, v93
	v_add_f16_sdwa v94, v33, v94 dst_sel:DWORD dst_unused:UNUSED_PAD src0_sel:WORD_1 src1_sel:DWORD
	v_sub_f16_e32 v101, v101, v139
	v_add_f16_e32 v97, v33, v97
	v_fma_f16 v99, v2, s6, v84
	v_mul_f16_e32 v88, 0xbbf1, v88
	v_add_f16_e32 v60, v72, v60
	v_add_f16_e32 v7, v36, v7
	v_fma_f16 v36, v83, s17, v186
	v_mul_f16_e32 v134, 0xb5ac, v0
	v_mul_f16_e32 v135, 0xbb7b, v1
	;; [unrolled: 1-line block ×3, first 2 shown]
	v_fma_f16 v192, v67, s18, v191
	v_add_f16_e32 v94, v101, v94
	v_sub_f16_e32 v101, v109, v145
	v_add_f16_e32 v97, v99, v97
	v_fma_f16 v99, v38, s7, v88
	v_mul_f16_e32 v93, 0xbb7b, v93
	v_add_f16_e32 v60, v73, v60
	v_add_f16_e32 v7, v36, v7
	v_fma_f16 v36, v0, s19, -v187
	v_fma_f16 v1, v1, s2, v82
	v_fma_f16 v0, v0, s21, -v79
	v_mul_f16_e32 v140, 0xb9fd, v2
	v_mul_f16_e32 v141, 0x394e, v5
	;; [unrolled: 1-line block ×3, first 2 shown]
	v_add_f16_e32 v188, v192, v188
	v_mul_f16_e32 v192, 0x3770, v98
	v_sub_f16_e32 v104, v104, v135
	v_add_f16_e32 v100, v134, v100
	v_add_f16_e32 v94, v101, v94
	v_sub_f16_e32 v101, v117, v151
	v_add_f16_e32 v97, v99, v97
	v_fma_f16 v99, v67, s14, v93
	v_mul_f16_e32 v98, 0xb94e, v98
	v_add_f16_e32 v60, v74, v60
	v_fma_f16 v37, v2, s7, -v189
	v_add_f16_sdwa v1, v33, v1 dst_sel:DWORD dst_unused:UNUSED_PAD src0_sel:WORD_1 src1_sel:DWORD
	v_fma_f16 v5, v5, s15, v86
	v_add_f16_e32 v0, v33, v0
	v_fma_f16 v2, v2, s6, -v84
	v_mul_f16_e32 v146, 0x3b15, v38
	v_mul_f16_e32 v147, 0x3770, v43
	;; [unrolled: 1-line block ×3, first 2 shown]
	v_add_f16_sdwa v104, v33, v104 dst_sel:DWORD dst_unused:UNUSED_PAD src0_sel:WORD_1 src1_sel:DWORD
	v_sub_f16_e32 v112, v112, v141
	v_add_f16_e32 v100, v33, v100
	v_add_f16_e32 v108, v140, v108
	;; [unrolled: 1-line block ×3, first 2 shown]
	v_sub_f16_e32 v101, v122, v157
	v_add_f16_e32 v97, v99, v97
	v_fma_f16 v99, v78, s19, v98
	v_add_f16_e32 v60, v75, v60
	v_add_f16_e32 v3, v39, v3
	;; [unrolled: 1-line block ×3, first 2 shown]
	v_fma_f16 v5, v43, s16, v90
	v_add_f16_e32 v0, v2, v0
	v_fma_f16 v2, v38, s7, -v88
	v_mul_f16_e32 v152, 0x2fb7, v67
	v_mul_f16_e32 v153, 0xbbf1, v68
	v_add_f16_e32 v104, v112, v104
	v_sub_f16_e32 v112, v119, v147
	v_add_f16_e32 v100, v108, v100
	v_add_f16_e32 v108, v146, v115
	;; [unrolled: 1-line block ×3, first 2 shown]
	v_sub_f16_e32 v101, v126, v163
	v_add_f16_e32 v97, v99, v97
	v_mul_f16_e32 v99, 0xb3a8, v105
	v_add_f16_e32 v60, v76, v60
	v_add_f16_e32 v3, v40, v3
	;; [unrolled: 1-line block ×3, first 2 shown]
	v_fma_f16 v5, v68, s17, v92
	v_add_f16_e32 v0, v2, v0
	v_fma_f16 v2, v67, s14, -v93
	v_mul_f16_e32 v158, 0xbbc4, v78
	v_mul_f16_e32 v159, 0x33a8, v80
	v_fma_f16 v193, v78, s21, v192
	v_add_f16_e32 v104, v112, v104
	v_sub_f16_e32 v112, v123, v153
	v_add_f16_e32 v100, v108, v100
	v_add_f16_e32 v108, v152, v121
	;; [unrolled: 1-line block ×3, first 2 shown]
	v_fma_f16 v101, v81, s18, v99
	v_add_f16_e32 v60, v77, v60
	v_add_f16_e32 v3, v41, v3
	;; [unrolled: 1-line block ×4, first 2 shown]
	v_fma_f16 v5, v80, s24, v95
	v_add_f16_e32 v0, v2, v0
	v_fma_f16 v2, v78, s19, -v98
	v_mul_f16_e32 v164, 0x388b, v81
	v_mul_f16_e32 v165, 0x3a95, v83
	v_add_f16_e32 v188, v193, v188
	v_mul_f16_e32 v193, 0xbb7b, v105
	v_add_f16_e32 v104, v112, v104
	v_sub_f16_e32 v112, v127, v159
	v_add_f16_e32 v100, v108, v100
	v_add_f16_e32 v108, v158, v125
	;; [unrolled: 1-line block ×6, first 2 shown]
	v_fma_f16 v37, v38, s6, -v190
	v_add_f16_e32 v1, v5, v1
	v_fma_f16 v5, v83, s20, v96
	v_add_f16_e32 v0, v2, v0
	v_fma_f16 v2, v81, s18, -v99
	v_fma_f16 v194, v81, s14, v193
	v_add_f16_e32 v104, v112, v104
	v_sub_f16_e32 v112, v129, v165
	v_add_f16_e32 v100, v108, v100
	v_add_f16_e32 v108, v164, v128
	;; [unrolled: 1-line block ×3, first 2 shown]
	v_fma_f16 v37, v67, s18, -v191
	v_add_f16_e32 v1, v5, v1
	v_add_f16_e32 v0, v2, v0
	v_add_lshl_u32 v2, v57, v56, 2
	v_pack_b32_f16 v3, v44, v3
	v_pack_b32_f16 v5, v97, v89
	v_add_f16_e32 v188, v194, v188
	v_add_f16_e32 v104, v112, v104
	;; [unrolled: 1-line block ×4, first 2 shown]
	v_fma_f16 v37, v78, s21, -v192
	ds_write2_b32 v2, v3, v5 offset1:3
	v_pack_b32_f16 v3, v85, v87
	v_pack_b32_f16 v5, v91, v94
	v_add_f16_e32 v36, v37, v36
	v_fma_f16 v37, v81, s14, -v193
	ds_write2_b32 v2, v3, v5 offset0:6 offset1:9
	v_pack_b32_f16 v3, v100, v104
	v_pack_b32_f16 v5, v188, v181
	v_add_f16_e32 v36, v37, v36
	ds_write2_b32 v2, v3, v5 offset0:12 offset1:15
	v_pack_b32_f16 v3, v174, v167
	v_pack_b32_f16 v4, v6, v4
	s_mov_b32 s2, 0x5040100
	ds_write2_b32 v2, v3, v4 offset0:18 offset1:21
	v_pack_b32_f16 v3, v36, v7
	v_perm_b32 v4, v34, v8, s2
	ds_write2_b32 v2, v3, v4 offset0:24 offset1:27
	v_perm_b32 v3, v35, v10, s2
	v_perm_b32 v4, v11, v9, s2
	v_pack_b32_f16 v0, v0, v1
	ds_write2_b32 v2, v3, v4 offset0:30 offset1:33
	ds_write_b32 v2, v0 offset:144
.LBB0_25:
	s_or_b64 exec, exec, s[4:5]
	v_add_u32_e32 v4, 0xc00, v45
	s_waitcnt lgkmcnt(0)
	s_barrier
	v_add_u32_e32 v0, 0x300, v45
	ds_read2_b32 v[6:7], v4 offset0:90 offset1:207
	v_add_u32_e32 v4, 0x800, v45
	ds_read2_b32 v[2:3], v45 offset1:117
	ds_read2_b32 v[0:1], v0 offset0:42 offset1:237
	ds_read2_b32 v[4:5], v4 offset0:34 offset1:151
	ds_read_b32 v33, v45 offset:4368
	s_and_saveexec_b64 s[2:3], s[0:1]
	s_cbranch_execz .LBB0_27
; %bb.26:
	ds_read_b32 v8, v45 offset:1404
	ds_read_b32 v10, v45 offset:3120
	;; [unrolled: 1-line block ×3, first 2 shown]
	s_waitcnt lgkmcnt(2)
	v_lshrrev_b32_e32 v34, 16, v8
	s_waitcnt lgkmcnt(1)
	v_lshrrev_b32_e32 v35, 16, v10
	;; [unrolled: 2-line block ×3, first 2 shown]
.LBB0_27:
	s_or_b64 exec, exec, s[2:3]
	s_waitcnt lgkmcnt(2)
	v_lshrrev_b32_e32 v37, 16, v1
	v_mul_f16_sdwa v56, v29, v37 dst_sel:DWORD dst_unused:UNUSED_PAD src0_sel:WORD_1 src1_sel:DWORD
	v_lshrrev_b32_e32 v38, 16, v6
	v_fma_f16 v56, v29, v1, v56
	v_mul_f16_sdwa v1, v29, v1 dst_sel:DWORD dst_unused:UNUSED_PAD src0_sel:WORD_1 src1_sel:DWORD
	v_fma_f16 v1, v29, v37, -v1
	v_mul_f16_sdwa v29, v30, v38 dst_sel:DWORD dst_unused:UNUSED_PAD src0_sel:WORD_1 src1_sel:DWORD
	s_waitcnt lgkmcnt(1)
	v_lshrrev_b32_e32 v40, 16, v4
	v_fma_f16 v29, v30, v6, v29
	v_mul_f16_sdwa v6, v30, v6 dst_sel:DWORD dst_unused:UNUSED_PAD src0_sel:WORD_1 src1_sel:DWORD
	v_fma_f16 v6, v30, v38, -v6
	v_mul_f16_sdwa v30, v27, v40 dst_sel:DWORD dst_unused:UNUSED_PAD src0_sel:WORD_1 src1_sel:DWORD
	v_lshrrev_b32_e32 v41, 16, v7
	v_fma_f16 v30, v27, v4, v30
	v_mul_f16_sdwa v4, v27, v4 dst_sel:DWORD dst_unused:UNUSED_PAD src0_sel:WORD_1 src1_sel:DWORD
	v_fma_f16 v4, v27, v40, -v4
	v_mul_f16_sdwa v27, v28, v41 dst_sel:DWORD dst_unused:UNUSED_PAD src0_sel:WORD_1 src1_sel:DWORD
	;; [unrolled: 5-line block ×3, first 2 shown]
	s_waitcnt lgkmcnt(0)
	v_lshrrev_b32_e32 v44, 16, v33
	v_fma_f16 v28, v25, v5, v28
	v_mul_f16_sdwa v5, v25, v5 dst_sel:DWORD dst_unused:UNUSED_PAD src0_sel:WORD_1 src1_sel:DWORD
	v_fma_f16 v5, v25, v43, -v5
	v_mul_f16_sdwa v25, v26, v44 dst_sel:DWORD dst_unused:UNUSED_PAD src0_sel:WORD_1 src1_sel:DWORD
	v_fma_f16 v25, v26, v33, v25
	v_mul_f16_sdwa v33, v26, v33 dst_sel:DWORD dst_unused:UNUSED_PAD src0_sel:WORD_1 src1_sel:DWORD
	v_add_f16_e32 v37, v56, v29
	v_lshrrev_b32_e32 v36, 16, v2
	v_fma_f16 v26, v26, v44, -v33
	v_add_f16_e32 v33, v2, v56
	v_fma_f16 v2, v37, -0.5, v2
	v_sub_f16_e32 v37, v1, v6
	s_mov_b32 s4, 0xbaee
	s_movk_i32 s5, 0x3aee
	v_fma_f16 v38, v37, s4, v2
	v_fma_f16 v2, v37, s5, v2
	v_add_f16_e32 v37, v36, v1
	v_add_f16_e32 v1, v1, v6
	;; [unrolled: 1-line block ×3, first 2 shown]
	v_fma_f16 v1, v1, -0.5, v36
	v_sub_f16_e32 v6, v56, v29
	v_add_f16_e32 v36, v30, v27
	v_lshrrev_b32_e32 v39, 16, v3
	v_add_f16_e32 v33, v33, v29
	v_fma_f16 v29, v6, s5, v1
	v_fma_f16 v1, v6, s4, v1
	v_add_f16_e32 v6, v3, v30
	v_fma_f16 v3, v36, -0.5, v3
	v_sub_f16_e32 v36, v4, v7
	v_fma_f16 v40, v36, s4, v3
	v_fma_f16 v3, v36, s5, v3
	v_add_f16_e32 v36, v39, v4
	v_add_f16_e32 v4, v4, v7
	;; [unrolled: 1-line block ×3, first 2 shown]
	v_fma_f16 v4, v4, -0.5, v39
	v_sub_f16_e32 v7, v30, v27
	v_add_f16_e32 v30, v28, v25
	v_lshrrev_b32_e32 v42, 16, v0
	v_add_f16_e32 v6, v6, v27
	v_fma_f16 v27, v7, s5, v4
	v_fma_f16 v4, v7, s4, v4
	v_add_f16_e32 v7, v0, v28
	v_fma_f16 v0, v30, -0.5, v0
	v_sub_f16_e32 v30, v5, v26
	v_fma_f16 v39, v30, s4, v0
	v_fma_f16 v0, v30, s5, v0
	v_add_f16_e32 v30, v42, v5
	v_add_f16_e32 v5, v5, v26
	;; [unrolled: 1-line block ×3, first 2 shown]
	v_fma_f16 v5, v5, -0.5, v42
	v_sub_f16_e32 v25, v28, v25
	v_pack_b32_f16 v1, v2, v1
	v_add_f16_e32 v30, v30, v26
	v_fma_f16 v26, v25, s5, v5
	v_fma_f16 v5, v25, s4, v5
	s_barrier
	v_pack_b32_f16 v25, v33, v37
	v_pack_b32_f16 v28, v38, v29
	ds_write_b32 v64, v1 offset:312
	v_pack_b32_f16 v1, v6, v36
	v_pack_b32_f16 v2, v40, v27
	ds_write2_b32 v64, v25, v28 offset1:39
	ds_write2_b32 v65, v1, v2 offset1:39
	v_pack_b32_f16 v1, v3, v4
	ds_write_b32 v65, v1 offset:312
	v_pack_b32_f16 v1, v7, v30
	v_pack_b32_f16 v2, v39, v26
	v_pack_b32_f16 v0, v0, v5
	ds_write2_b32 v66, v1, v2 offset1:39
	ds_write_b32 v66, v0 offset:312
	s_and_saveexec_b64 s[2:3], s[0:1]
	s_cbranch_execz .LBB0_29
; %bb.28:
	v_mul_f16_sdwa v0, v23, v10 dst_sel:DWORD dst_unused:UNUSED_PAD src0_sel:WORD_1 src1_sel:DWORD
	v_mul_f16_sdwa v1, v24, v9 dst_sel:DWORD dst_unused:UNUSED_PAD src0_sel:WORD_1 src1_sel:DWORD
	v_fma_f16 v0, v23, v35, -v0
	v_fma_f16 v1, v24, v11, -v1
	v_mul_f16_sdwa v3, v23, v35 dst_sel:DWORD dst_unused:UNUSED_PAD src0_sel:WORD_1 src1_sel:DWORD
	v_mul_f16_sdwa v4, v24, v11 dst_sel:DWORD dst_unused:UNUSED_PAD src0_sel:WORD_1 src1_sel:DWORD
	v_add_f16_e32 v2, v0, v1
	v_fma_f16 v3, v23, v10, v3
	v_fma_f16 v4, v24, v9, v4
	v_fma_f16 v2, v2, -0.5, v34
	v_sub_f16_e32 v5, v3, v4
	v_add_f16_e32 v7, v3, v4
	v_fma_f16 v6, v5, s4, v2
	v_fma_f16 v2, v5, s5, v2
	v_add_f16_e32 v5, v34, v0
	v_fma_f16 v7, v7, -0.5, v8
	v_sub_f16_e32 v0, v0, v1
	v_add_f16_e32 v5, v5, v1
	v_fma_f16 v1, v0, s5, v7
	v_fma_f16 v0, v0, s4, v7
	v_add_f16_e32 v3, v8, v3
	s_movk_i32 s4, 0x75
	v_add_f16_e32 v3, v3, v4
	v_mad_legacy_u16 v4, v62, s4, v63
	v_lshlrev_b32_e32 v4, 2, v4
	v_pack_b32_f16 v3, v3, v5
	v_pack_b32_f16 v0, v0, v2
	ds_write2_b32 v4, v3, v0 offset1:39
	v_pack_b32_f16 v0, v1, v6
	ds_write_b32 v4, v0 offset:312
.LBB0_29:
	s_or_b64 exec, exec, s[2:3]
	s_waitcnt lgkmcnt(0)
	s_barrier
	ds_read2_b32 v[0:1], v45 offset1:117
	v_add_u32_e32 v10, 0x200, v45
	ds_read2_b32 v[2:3], v10 offset0:106 offset1:223
	v_add_u32_e32 v11, 0x600, v45
	ds_read2_b32 v[4:5], v11 offset0:84 offset1:201
	s_waitcnt lgkmcnt(2)
	v_lshrrev_b32_e32 v23, 16, v1
	v_mul_f16_sdwa v38, v12, v23 dst_sel:DWORD dst_unused:UNUSED_PAD src0_sel:WORD_1 src1_sel:DWORD
	s_waitcnt lgkmcnt(1)
	v_lshrrev_b32_e32 v24, 16, v2
	v_fma_f16 v38, v12, v1, v38
	v_mul_f16_sdwa v1, v12, v1 dst_sel:DWORD dst_unused:UNUSED_PAD src0_sel:WORD_1 src1_sel:DWORD
	v_fma_f16 v1, v12, v23, -v1
	v_mul_f16_sdwa v12, v13, v24 dst_sel:DWORD dst_unused:UNUSED_PAD src0_sel:WORD_1 src1_sel:DWORD
	v_lshrrev_b32_e32 v25, 16, v3
	v_add_u32_e32 v27, 0xa00, v45
	v_fma_f16 v12, v13, v2, v12
	v_mul_f16_sdwa v2, v13, v2 dst_sel:DWORD dst_unused:UNUSED_PAD src0_sel:WORD_1 src1_sel:DWORD
	ds_read2_b32 v[6:7], v27 offset0:62 offset1:179
	v_fma_f16 v2, v13, v24, -v2
	v_mul_f16_sdwa v13, v14, v25 dst_sel:DWORD dst_unused:UNUSED_PAD src0_sel:WORD_1 src1_sel:DWORD
	s_waitcnt lgkmcnt(1)
	v_lshrrev_b32_e32 v26, 16, v4
	v_fma_f16 v13, v14, v3, v13
	v_mul_f16_sdwa v3, v14, v3 dst_sel:DWORD dst_unused:UNUSED_PAD src0_sel:WORD_1 src1_sel:DWORD
	v_fma_f16 v3, v14, v25, -v3
	v_mul_f16_sdwa v14, v15, v26 dst_sel:DWORD dst_unused:UNUSED_PAD src0_sel:WORD_1 src1_sel:DWORD
	v_add_u32_e32 v28, 0xe00, v45
	v_lshrrev_b32_e32 v29, 16, v5
	v_fma_f16 v14, v15, v4, v14
	v_mul_f16_sdwa v4, v15, v4 dst_sel:DWORD dst_unused:UNUSED_PAD src0_sel:WORD_1 src1_sel:DWORD
	ds_read2_b32 v[8:9], v28 offset0:40 offset1:157
	v_fma_f16 v4, v15, v26, -v4
	v_mul_f16_sdwa v15, v16, v29 dst_sel:DWORD dst_unused:UNUSED_PAD src0_sel:WORD_1 src1_sel:DWORD
	s_waitcnt lgkmcnt(1)
	v_lshrrev_b32_e32 v33, 16, v6
	v_fma_f16 v15, v16, v5, v15
	v_mul_f16_sdwa v5, v16, v5 dst_sel:DWORD dst_unused:UNUSED_PAD src0_sel:WORD_1 src1_sel:DWORD
	v_fma_f16 v5, v16, v29, -v5
	v_mul_f16_sdwa v16, v17, v33 dst_sel:DWORD dst_unused:UNUSED_PAD src0_sel:WORD_1 src1_sel:DWORD
	v_lshrrev_b32_e32 v34, 16, v7
	v_fma_f16 v16, v17, v6, v16
	v_mul_f16_sdwa v6, v17, v6 dst_sel:DWORD dst_unused:UNUSED_PAD src0_sel:WORD_1 src1_sel:DWORD
	v_add_f16_e32 v25, v0, v38
	v_add_f16_sdwa v26, v0, v1 dst_sel:DWORD dst_unused:UNUSED_PAD src0_sel:WORD_1 src1_sel:DWORD
	ds_read_b32 v30, v45 offset:4680
	v_fma_f16 v6, v17, v33, -v6
	v_mul_f16_sdwa v17, v18, v34 dst_sel:DWORD dst_unused:UNUSED_PAD src0_sel:WORD_1 src1_sel:DWORD
	v_add_f16_e32 v25, v25, v12
	v_add_f16_e32 v26, v26, v2
	s_waitcnt lgkmcnt(1)
	v_lshrrev_b32_e32 v35, 16, v8
	v_fma_f16 v17, v18, v7, v17
	v_mul_f16_sdwa v7, v18, v7 dst_sel:DWORD dst_unused:UNUSED_PAD src0_sel:WORD_1 src1_sel:DWORD
	v_add_f16_e32 v25, v25, v13
	v_add_f16_e32 v26, v26, v3
	v_fma_f16 v7, v18, v34, -v7
	v_mul_f16_sdwa v18, v19, v35 dst_sel:DWORD dst_unused:UNUSED_PAD src0_sel:WORD_1 src1_sel:DWORD
	v_add_f16_e32 v25, v25, v14
	v_add_f16_e32 v26, v26, v4
	v_lshrrev_b32_e32 v36, 16, v9
	v_fma_f16 v18, v19, v8, v18
	v_mul_f16_sdwa v8, v19, v8 dst_sel:DWORD dst_unused:UNUSED_PAD src0_sel:WORD_1 src1_sel:DWORD
	v_add_f16_e32 v25, v25, v15
	v_add_f16_e32 v26, v26, v5
	v_fma_f16 v8, v19, v35, -v8
	v_mul_f16_sdwa v19, v31, v36 dst_sel:DWORD dst_unused:UNUSED_PAD src0_sel:WORD_1 src1_sel:DWORD
	v_add_f16_e32 v25, v25, v16
	v_add_f16_e32 v26, v26, v6
	s_waitcnt lgkmcnt(0)
	v_lshrrev_b32_e32 v37, 16, v30
	v_fma_f16 v19, v31, v9, v19
	v_mul_f16_sdwa v9, v31, v9 dst_sel:DWORD dst_unused:UNUSED_PAD src0_sel:WORD_1 src1_sel:DWORD
	v_mul_f16_sdwa v24, v32, v30 dst_sel:DWORD dst_unused:UNUSED_PAD src0_sel:WORD_1 src1_sel:DWORD
	v_add_f16_e32 v25, v25, v17
	v_add_f16_e32 v26, v26, v7
	v_fma_f16 v9, v31, v36, -v9
	v_mul_f16_sdwa v23, v32, v37 dst_sel:DWORD dst_unused:UNUSED_PAD src0_sel:WORD_1 src1_sel:DWORD
	v_fma_f16 v24, v32, v37, -v24
	v_add_f16_e32 v25, v25, v18
	v_add_f16_e32 v26, v26, v8
	v_fma_f16 v23, v32, v30, v23
	v_add_f16_e32 v25, v25, v19
	v_add_f16_e32 v26, v26, v9
	;; [unrolled: 1-line block ×3, first 2 shown]
	v_sub_f16_e32 v1, v1, v24
	v_add_f16_e32 v25, v25, v23
	v_add_f16_e32 v26, v26, v24
	;; [unrolled: 1-line block ×3, first 2 shown]
	v_sub_f16_e32 v23, v38, v23
	s_mov_b32 s7, 0xb853
	v_mul_f16_e32 v24, 0xb853, v1
	s_movk_i32 s14, 0x3abb
	v_mul_f16_e32 v32, 0x3abb, v30
	s_movk_i32 s15, 0x3853
	s_mov_b32 s3, 0xbb47
	v_mul_f16_e32 v34, 0xbb47, v1
	s_movk_i32 s4, 0x36a6
	v_mul_f16_e32 v36, 0x36a6, v30
	s_movk_i32 s5, 0x3b47
	s_mov_b32 s2, 0xbbeb
	v_mul_f16_e32 v38, 0xbbeb, v1
	s_mov_b32 s6, 0xb08e
	v_mul_f16_e32 v40, 0xb08e, v30
	s_movk_i32 s16, 0x3beb
	s_mov_b32 s17, 0xba0c
	v_mul_f16_e32 v42, 0xba0c, v1
	s_mov_b32 s18, 0xb93d
	;; [unrolled: 5-line block ×3, first 2 shown]
	v_mul_f16_e32 v30, 0xbbad, v30
	s_movk_i32 s22, 0x3482
	v_fma_f16 v31, v29, s14, v24
	v_fma_f16 v33, v23, s15, v32
	v_fma_f16 v24, v29, s14, -v24
	v_fma_f16 v32, v23, s7, v32
	v_fma_f16 v35, v29, s4, v34
	v_fma_f16 v37, v23, s5, v36
	v_fma_f16 v34, v29, s4, -v34
	v_fma_f16 v36, v23, s3, v36
	;; [unrolled: 4-line block ×5, first 2 shown]
	v_add_f16_e32 v29, v2, v9
	v_sub_f16_e32 v2, v2, v9
	v_add_f16_e32 v31, v0, v31
	v_add_f16_sdwa v33, v0, v33 dst_sel:DWORD dst_unused:UNUSED_PAD src0_sel:WORD_1 src1_sel:DWORD
	v_add_f16_e32 v24, v0, v24
	v_add_f16_sdwa v32, v0, v32 dst_sel:DWORD dst_unused:UNUSED_PAD src0_sel:WORD_1 src1_sel:DWORD
	;; [unrolled: 2-line block ×10, first 2 shown]
	v_add_f16_e32 v23, v12, v19
	v_mul_f16_e32 v9, 0xbb47, v2
	v_sub_f16_e32 v12, v12, v19
	v_fma_f16 v19, v23, s4, v9
	v_mul_f16_e32 v30, 0x36a6, v29
	v_fma_f16 v9, v23, s4, -v9
	v_add_f16_e32 v19, v19, v31
	v_fma_f16 v31, v12, s5, v30
	v_add_f16_e32 v9, v9, v24
	v_fma_f16 v24, v12, s3, v30
	v_mul_f16_e32 v30, 0xba0c, v2
	v_add_f16_e32 v31, v31, v33
	v_add_f16_e32 v24, v24, v32
	v_fma_f16 v32, v23, s18, v30
	v_mul_f16_e32 v33, 0xb93d, v29
	v_fma_f16 v30, v23, s18, -v30
	v_add_f16_e32 v32, v32, v35
	v_fma_f16 v35, v12, s19, v33
	v_add_f16_e32 v30, v30, v34
	v_fma_f16 v33, v12, s17, v33
	v_mul_f16_e32 v34, 0x3482, v2
	v_add_f16_e32 v35, v35, v37
	v_add_f16_e32 v33, v33, v36
	;; [unrolled: 10-line block ×3, first 2 shown]
	v_fma_f16 v40, v23, s6, v38
	v_mul_f16_e32 v41, 0xb08e, v29
	v_fma_f16 v38, v23, s6, -v38
	v_mul_f16_e32 v2, 0x3853, v2
	v_add_f16_e32 v40, v40, v43
	v_fma_f16 v43, v12, s2, v41
	v_add_f16_e32 v38, v38, v42
	v_fma_f16 v41, v12, s16, v41
	v_fma_f16 v42, v23, s14, v2
	v_mul_f16_e32 v29, 0x3abb, v29
	v_fma_f16 v2, v23, s14, -v2
	v_add_f16_e32 v41, v41, v44
	v_fma_f16 v44, v12, s7, v29
	v_add_f16_e32 v1, v2, v1
	v_fma_f16 v2, v12, s15, v29
	v_add_f16_e32 v12, v3, v8
	v_sub_f16_e32 v3, v3, v8
	v_add_f16_e32 v0, v2, v0
	v_add_f16_e32 v2, v13, v18
	v_mul_f16_e32 v8, 0xbbeb, v3
	v_sub_f16_e32 v13, v13, v18
	v_fma_f16 v18, v2, s6, v8
	v_add_f16_e32 v18, v18, v19
	v_mul_f16_e32 v19, 0xb08e, v12
	v_fma_f16 v8, v2, s6, -v8
	v_fma_f16 v23, v13, s16, v19
	v_add_f16_e32 v8, v8, v9
	v_fma_f16 v9, v13, s2, v19
	v_mul_f16_e32 v19, 0x3482, v3
	v_add_f16_e32 v9, v9, v24
	v_fma_f16 v24, v2, s21, v19
	v_fma_f16 v19, v2, s21, -v19
	v_mul_f16_e32 v29, 0xbbad, v12
	v_add_f16_e32 v19, v19, v30
	v_mul_f16_e32 v30, 0x3b47, v3
	v_add_f16_e32 v23, v23, v31
	v_add_f16_e32 v24, v24, v32
	v_fma_f16 v31, v13, s20, v29
	v_fma_f16 v29, v13, s22, v29
	;; [unrolled: 1-line block ×3, first 2 shown]
	v_fma_f16 v30, v2, s4, -v30
	v_add_f16_e32 v29, v29, v33
	v_mul_f16_e32 v33, 0x36a6, v12
	v_add_f16_e32 v30, v30, v34
	v_mul_f16_e32 v34, 0xb853, v3
	v_add_f16_e32 v31, v31, v35
	v_add_f16_e32 v32, v32, v36
	v_fma_f16 v35, v13, s3, v33
	v_fma_f16 v33, v13, s5, v33
	;; [unrolled: 1-line block ×3, first 2 shown]
	v_fma_f16 v34, v2, s14, -v34
	v_mul_f16_e32 v3, 0xba0c, v3
	v_add_f16_e32 v33, v33, v37
	v_mul_f16_e32 v37, 0x3abb, v12
	v_add_f16_e32 v34, v34, v38
	v_fma_f16 v38, v2, s18, v3
	v_mul_f16_e32 v12, 0xb93d, v12
	v_fma_f16 v2, v2, s18, -v3
	v_add_f16_e32 v1, v2, v1
	v_fma_f16 v2, v13, s17, v12
	v_add_f16_e32 v3, v4, v7
	v_sub_f16_e32 v4, v4, v7
	v_add_f16_e32 v0, v2, v0
	v_add_f16_e32 v2, v14, v17
	v_mul_f16_e32 v7, 0xba0c, v4
	v_add_f16_e32 v35, v35, v39
	v_add_f16_e32 v36, v36, v40
	v_fma_f16 v39, v13, s15, v37
	v_fma_f16 v37, v13, s7, v37
	;; [unrolled: 1-line block ×3, first 2 shown]
	v_sub_f16_e32 v12, v14, v17
	v_fma_f16 v13, v2, s18, v7
	v_mul_f16_e32 v14, 0xb93d, v3
	v_fma_f16 v7, v2, s18, -v7
	v_add_f16_e32 v7, v7, v8
	v_fma_f16 v8, v12, s17, v14
	v_add_f16_e32 v8, v8, v9
	v_mul_f16_e32 v9, 0x3beb, v4
	v_fma_f16 v17, v12, s19, v14
	v_fma_f16 v14, v2, s6, v9
	v_fma_f16 v9, v2, s6, -v9
	v_add_f16_e32 v13, v13, v18
	v_mul_f16_e32 v18, 0xb08e, v3
	v_add_f16_e32 v9, v9, v19
	v_mul_f16_e32 v19, 0xb853, v4
	v_add_f16_e32 v17, v17, v23
	v_add_f16_e32 v14, v14, v24
	v_fma_f16 v23, v12, s2, v18
	v_fma_f16 v18, v12, s16, v18
	;; [unrolled: 1-line block ×3, first 2 shown]
	v_fma_f16 v19, v2, s14, -v19
	v_add_f16_e32 v18, v18, v29
	v_mul_f16_e32 v29, 0x3abb, v3
	v_add_f16_e32 v19, v19, v30
	v_mul_f16_e32 v30, 0xb482, v4
	v_add_f16_e32 v23, v23, v31
	v_add_f16_e32 v24, v24, v32
	v_fma_f16 v31, v12, s15, v29
	v_fma_f16 v29, v12, s7, v29
	;; [unrolled: 1-line block ×3, first 2 shown]
	v_fma_f16 v30, v2, s21, -v30
	v_mul_f16_e32 v4, 0x3b47, v4
	v_add_f16_e32 v29, v29, v33
	v_mul_f16_e32 v33, 0xbbad, v3
	v_add_f16_e32 v30, v30, v34
	v_fma_f16 v34, v2, s4, v4
	v_mul_f16_e32 v3, 0x36a6, v3
	v_fma_f16 v2, v2, s4, -v4
	v_add_f16_e32 v32, v32, v36
	v_fma_f16 v36, v12, s3, v3
	v_add_f16_e32 v1, v2, v1
	v_fma_f16 v2, v12, s5, v3
	v_add_f16_e32 v3, v5, v6
	v_sub_f16_e32 v5, v5, v6
	v_add_f16_e32 v0, v2, v0
	v_add_f16_e32 v2, v15, v16
	v_mul_f16_e32 v6, 0xb482, v5
	v_add_f16_e32 v31, v31, v35
	v_fma_f16 v35, v12, s22, v33
	v_fma_f16 v33, v12, s20, v33
	;; [unrolled: 1-line block ×3, first 2 shown]
	v_sub_f16_e32 v4, v15, v16
	v_add_f16_e32 v12, v12, v13
	v_mul_f16_e32 v13, 0xbbad, v3
	v_fma_f16 v6, v2, s21, -v6
	v_add_f16_e32 v6, v6, v7
	v_fma_f16 v7, v4, s20, v13
	v_add_f16_e32 v7, v7, v8
	v_mul_f16_e32 v8, 0x3853, v5
	v_fma_f16 v15, v4, s22, v13
	v_fma_f16 v13, v2, s14, v8
	v_add_f16_e32 v13, v13, v14
	v_mul_f16_e32 v14, 0x3abb, v3
	v_fma_f16 v8, v2, s14, -v8
	v_fma_f16 v16, v4, s7, v14
	v_add_f16_e32 v8, v8, v9
	v_fma_f16 v9, v4, s15, v14
	v_mul_f16_e32 v14, 0xba0c, v5
	v_add_f16_e32 v15, v15, v17
	v_fma_f16 v17, v2, s18, v14
	v_fma_f16 v14, v2, s18, -v14
	v_add_f16_e32 v9, v9, v18
	v_mul_f16_e32 v18, 0xb93d, v3
	v_add_f16_e32 v14, v14, v19
	v_mul_f16_e32 v19, 0x3b47, v5
	v_add_f16_e32 v16, v16, v23
	v_add_f16_e32 v17, v17, v24
	v_fma_f16 v23, v4, s19, v18
	v_fma_f16 v18, v4, s17, v18
	;; [unrolled: 1-line block ×3, first 2 shown]
	v_fma_f16 v19, v2, s4, -v19
	v_mul_f16_e32 v5, 0xbbeb, v5
	v_add_f16_e32 v37, v37, v41
	v_add_f16_e32 v18, v18, v29
	v_mul_f16_e32 v29, 0x36a6, v3
	v_add_f16_e32 v19, v19, v30
	v_fma_f16 v30, v2, s6, v5
	v_mul_f16_e32 v3, 0xb08e, v3
	v_fma_f16 v2, v2, s6, -v5
	v_add_f16_e32 v43, v43, v56
	v_add_f16_e32 v42, v42, v57
	;; [unrolled: 1-line block ×5, first 2 shown]
	v_fma_f16 v31, v4, s3, v29
	v_fma_f16 v29, v4, s5, v29
	v_add_f16_e32 v1, v2, v1
	v_fma_f16 v2, v4, s2, v3
	v_add_f16_e32 v39, v39, v43
	v_add_f16_e32 v38, v38, v42
	;; [unrolled: 1-line block ×5, first 2 shown]
	v_fma_f16 v32, v4, s16, v3
	v_add_f16_e32 v0, v2, v0
	v_pack_b32_f16 v2, v25, v26
	v_pack_b32_f16 v3, v12, v15
	v_add_f16_e32 v35, v35, v39
	v_add_f16_e32 v34, v34, v38
	;; [unrolled: 1-line block ×3, first 2 shown]
	ds_write2_b32 v45, v2, v3 offset1:117
	v_pack_b32_f16 v2, v13, v16
	v_pack_b32_f16 v3, v17, v23
	;; [unrolled: 1-line block ×4, first 2 shown]
	v_add_f16_e32 v31, v31, v35
	v_add_f16_e32 v30, v30, v34
	;; [unrolled: 1-line block ×3, first 2 shown]
	ds_write2_b32 v10, v2, v3 offset0:106 offset1:223
	ds_write2_b32 v27, v0, v1 offset0:62 offset1:179
	v_pack_b32_f16 v0, v14, v18
	v_pack_b32_f16 v1, v8, v9
	;; [unrolled: 1-line block ×4, first 2 shown]
	ds_write2_b32 v28, v0, v1 offset0:40 offset1:157
	v_pack_b32_f16 v0, v6, v7
	ds_write2_b32 v11, v2, v3 offset0:84 offset1:201
	ds_write_b32 v45, v0 offset:4680
	s_waitcnt lgkmcnt(0)
	s_barrier
	ds_read2_b32 v[2:3], v45 offset1:117
	s_mov_b32 s6, 0x768d3a48
	s_mov_b32 s7, 0x3f4975f4
	v_mad_u64_u32 v[4:5], s[2:3], s10, v22, 0
	s_waitcnt lgkmcnt(0)
	v_lshrrev_b32_e32 v7, 16, v2
	v_mul_f16_sdwa v0, v55, v7 dst_sel:DWORD dst_unused:UNUSED_PAD src0_sel:WORD_1 src1_sel:DWORD
	v_fma_f16 v0, v55, v2, v0
	v_cvt_f32_f16_e32 v0, v0
	s_movk_i32 s14, 0x1ff
	v_mad_u64_u32 v[5:6], s[2:3], s11, v22, v[5:6]
	v_cvt_f64_f32_e32 v[0:1], v0
	s_movk_i32 s15, 0xffe
	v_mul_f16_sdwa v2, v55, v2 dst_sel:DWORD dst_unused:UNUSED_PAD src0_sel:WORD_1 src1_sel:DWORD
	v_fma_f16 v2, v55, v7, -v2
	v_mul_f64 v[0:1], v[0:1], s[6:7]
	v_cvt_f32_f16_e32 v7, v2
	v_mov_b32_e32 v2, 0x7c00
	s_movk_i32 s16, 0x40f
	s_mov_b32 s17, 0x8000
	v_lshlrev_b64 v[4:5], 2, v[4:5]
	s_movk_i32 s18, 0x1000
	v_and_or_b32 v0, v1, s14, v0
	v_cmp_ne_u32_e32 vcc, 0, v0
	v_cndmask_b32_e64 v0, 0, 1, vcc
	v_lshrrev_b32_e32 v6, 8, v1
	v_bfe_u32 v8, v1, 20, 11
	v_and_or_b32 v0, v6, s15, v0
	v_sub_u32_e32 v9, 0x3f1, v8
	v_or_b32_e32 v6, 0x1000, v0
	v_med3_i32 v9, v9, 0, 13
	v_lshrrev_b32_e32 v10, v9, v6
	v_lshlrev_b32_e32 v9, v9, v10
	v_cmp_ne_u32_e32 vcc, v9, v6
	v_cndmask_b32_e64 v6, 0, 1, vcc
	v_add_u32_e32 v8, 0xfffffc10, v8
	v_or_b32_e32 v6, v10, v6
	v_lshl_or_b32 v9, v8, 12, v0
	v_cmp_gt_i32_e32 vcc, 1, v8
	v_cndmask_b32_e32 v6, v9, v6, vcc
	v_and_b32_e32 v9, 7, v6
	v_cmp_lt_i32_e32 vcc, 5, v9
	v_cmp_eq_u32_e64 s[2:3], 3, v9
	v_lshrrev_b32_e32 v6, 2, v6
	s_or_b64 vcc, s[2:3], vcc
	v_addc_co_u32_e32 v9, vcc, 0, v6, vcc
	v_cvt_f64_f32_e32 v[6:7], v7
	v_cmp_gt_i32_e32 vcc, 31, v8
	v_cndmask_b32_e32 v9, v2, v9, vcc
	v_cmp_ne_u32_e32 vcc, 0, v0
	v_mul_f64 v[6:7], v[6:7], s[6:7]
	v_cndmask_b32_e64 v0, 0, 1, vcc
	v_lshl_or_b32 v0, v0, 9, v2
	v_cmp_eq_u32_e32 vcc, s16, v8
	v_cndmask_b32_e32 v0, v9, v0, vcc
	v_lshrrev_b32_e32 v1, 16, v1
	v_and_or_b32 v10, v1, s17, v0
	v_and_b32_e32 v10, 0xffff, v10
	v_and_or_b32 v0, v7, s14, v6
	v_cmp_ne_u32_e32 vcc, 0, v0
	v_cndmask_b32_e64 v0, 0, 1, vcc
	v_lshrrev_b32_e32 v1, 8, v7
	v_bfe_u32 v6, v7, 20, 11
	v_and_or_b32 v0, v1, s15, v0
	v_sub_u32_e32 v8, 0x3f1, v6
	v_or_b32_e32 v1, 0x1000, v0
	v_med3_i32 v8, v8, 0, 13
	v_lshrrev_b32_e32 v9, v8, v1
	v_lshlrev_b32_e32 v8, v8, v9
	v_cmp_ne_u32_e32 vcc, v8, v1
	v_cndmask_b32_e64 v1, 0, 1, vcc
	v_add_u32_e32 v6, 0xfffffc10, v6
	v_or_b32_e32 v1, v9, v1
	v_lshl_or_b32 v8, v6, 12, v0
	v_cmp_gt_i32_e32 vcc, 1, v6
	v_cndmask_b32_e32 v1, v8, v1, vcc
	v_and_b32_e32 v8, 7, v1
	v_cmp_lt_i32_e32 vcc, 5, v8
	v_cmp_eq_u32_e64 s[2:3], 3, v8
	v_lshrrev_b32_e32 v1, 2, v1
	s_or_b64 vcc, s[2:3], vcc
	v_addc_co_u32_e32 v1, vcc, 0, v1, vcc
	v_cmp_gt_i32_e32 vcc, 31, v6
	v_cndmask_b32_e32 v1, v2, v1, vcc
	v_cmp_ne_u32_e32 vcc, 0, v0
	v_cndmask_b32_e64 v0, 0, 1, vcc
	v_lshl_or_b32 v0, v0, 9, v2
	v_cmp_eq_u32_e32 vcc, s16, v6
	v_cndmask_b32_e32 v11, v1, v0, vcc
	v_add_u32_e32 v0, 0x300, v45
	v_mad_u64_u32 v[8:9], s[2:3], s8, v53, 0
	ds_read2_b32 v[0:1], v0 offset0:42 offset1:237
	v_lshrrev_b32_e32 v12, 16, v7
	v_mov_b32_e32 v6, v9
	v_mad_u64_u32 v[6:7], s[2:3], s9, v53, v[6:7]
	s_waitcnt lgkmcnt(0)
	v_lshrrev_b32_e32 v13, 16, v1
	v_mul_f16_sdwa v7, v54, v13 dst_sel:DWORD dst_unused:UNUSED_PAD src0_sel:WORD_1 src1_sel:DWORD
	v_fma_f16 v7, v54, v1, v7
	v_cvt_f32_f16_e32 v7, v7
	v_mov_b32_e32 v9, v6
	v_and_or_b32 v11, v12, s17, v11
	v_lshl_or_b32 v10, v11, 16, v10
	v_cvt_f64_f32_e32 v[6:7], v7
	v_mov_b32_e32 v11, s13
	v_add_co_u32_e32 v12, vcc, s12, v4
	v_mul_f64 v[6:7], v[6:7], s[6:7]
	v_addc_co_u32_e32 v11, vcc, v11, v5, vcc
	v_lshlrev_b64 v[4:5], 2, v[8:9]
	v_mul_f16_sdwa v1, v54, v1 dst_sel:DWORD dst_unused:UNUSED_PAD src0_sel:WORD_1 src1_sel:DWORD
	v_add_co_u32_e32 v4, vcc, v12, v4
	v_addc_co_u32_e32 v5, vcc, v11, v5, vcc
	v_and_or_b32 v6, v7, s14, v6
	v_cmp_ne_u32_e32 vcc, 0, v6
	v_cndmask_b32_e64 v6, 0, 1, vcc
	v_lshrrev_b32_e32 v8, 8, v7
	v_bfe_u32 v9, v7, 20, 11
	global_store_dword v[4:5], v10, off
	v_and_or_b32 v6, v8, s15, v6
	v_sub_u32_e32 v10, 0x3f1, v9
	v_or_b32_e32 v8, 0x1000, v6
	v_med3_i32 v10, v10, 0, 13
	v_lshrrev_b32_e32 v11, v10, v8
	v_lshlrev_b32_e32 v10, v10, v11
	v_cmp_ne_u32_e32 vcc, v10, v8
	v_fma_f16 v1, v54, v13, -v1
	v_cndmask_b32_e64 v8, 0, 1, vcc
	v_add_u32_e32 v10, 0xfffffc10, v9
	v_cvt_f32_f16_e32 v1, v1
	v_or_b32_e32 v8, v11, v8
	v_lshl_or_b32 v9, v10, 12, v6
	v_cmp_gt_i32_e32 vcc, 1, v10
	v_cndmask_b32_e32 v8, v9, v8, vcc
	v_and_b32_e32 v9, 7, v8
	v_cmp_lt_i32_e32 vcc, 5, v9
	v_cmp_eq_u32_e64 s[2:3], 3, v9
	v_lshrrev_b32_e32 v11, 2, v8
	v_cvt_f64_f32_e32 v[8:9], v1
	s_or_b64 vcc, s[2:3], vcc
	v_addc_co_u32_e32 v1, vcc, 0, v11, vcc
	v_mul_f64 v[8:9], v[8:9], s[6:7]
	v_cmp_gt_i32_e32 vcc, 31, v10
	v_cndmask_b32_e32 v1, v2, v1, vcc
	v_cmp_ne_u32_e32 vcc, 0, v6
	v_cndmask_b32_e64 v6, 0, 1, vcc
	v_lshl_or_b32 v6, v6, 9, v2
	v_cmp_eq_u32_e32 vcc, s16, v10
	v_cndmask_b32_e32 v1, v1, v6, vcc
	v_lshrrev_b32_e32 v6, 16, v7
	v_and_or_b32 v1, v6, s17, v1
	v_and_or_b32 v6, v9, s14, v8
	v_cmp_ne_u32_e32 vcc, 0, v6
	v_cndmask_b32_e64 v6, 0, 1, vcc
	v_lshrrev_b32_e32 v7, 8, v9
	v_bfe_u32 v8, v9, 20, 11
	v_and_or_b32 v6, v7, s15, v6
	v_sub_u32_e32 v10, 0x3f1, v8
	v_or_b32_e32 v7, 0x1000, v6
	v_med3_i32 v10, v10, 0, 13
	v_lshrrev_b32_e32 v11, v10, v7
	v_lshlrev_b32_e32 v10, v10, v11
	v_cmp_ne_u32_e32 vcc, v10, v7
	v_cndmask_b32_e64 v7, 0, 1, vcc
	v_add_u32_e32 v8, 0xfffffc10, v8
	v_or_b32_e32 v7, v11, v7
	v_lshl_or_b32 v10, v8, 12, v6
	v_cmp_gt_i32_e32 vcc, 1, v8
	v_cndmask_b32_e32 v7, v10, v7, vcc
	v_and_b32_e32 v10, 7, v7
	v_cmp_lt_i32_e32 vcc, 5, v10
	v_cmp_eq_u32_e64 s[2:3], 3, v10
	v_lshrrev_b32_e32 v7, 2, v7
	s_or_b64 vcc, s[2:3], vcc
	v_addc_co_u32_e32 v7, vcc, 0, v7, vcc
	v_cmp_gt_i32_e32 vcc, 31, v8
	v_cndmask_b32_e32 v10, v2, v7, vcc
	v_cmp_ne_u32_e32 vcc, 0, v6
	v_cndmask_b32_e64 v6, 0, 1, vcc
	v_lshl_or_b32 v11, v6, 9, v2
	v_add_u32_e32 v6, 0xc00, v45
	ds_read2_b32 v[6:7], v6 offset0:90 offset1:207
	v_cmp_eq_u32_e32 vcc, s16, v8
	v_cndmask_b32_e32 v8, v10, v11, vcc
	v_lshrrev_b32_e32 v9, 16, v9
	v_and_or_b32 v10, v9, s17, v8
	s_waitcnt lgkmcnt(0)
	v_lshrrev_b32_e32 v11, 16, v6
	v_mul_f16_sdwa v8, v52, v11 dst_sel:DWORD dst_unused:UNUSED_PAD src0_sel:WORD_1 src1_sel:DWORD
	v_fma_f16 v8, v52, v6, v8
	v_cvt_f32_f16_e32 v8, v8
	s_mul_i32 s2, s9, 0x1ad
	s_mul_hi_u32 s3, s8, 0x1ad
	s_add_i32 s3, s3, s2
	v_cvt_f64_f32_e32 v[8:9], v8
	s_mul_i32 s2, s8, 0x1ad
	v_and_b32_e32 v1, 0xffff, v1
	s_lshl_b64 s[10:11], s[2:3], 2
	v_mul_f64 v[8:9], v[8:9], s[6:7]
	v_lshl_or_b32 v10, v10, 16, v1
	v_mov_b32_e32 v1, s11
	v_add_co_u32_e32 v4, vcc, s10, v4
	v_addc_co_u32_e32 v5, vcc, v5, v1, vcc
	global_store_dword v[4:5], v10, off
	v_and_or_b32 v8, v9, s14, v8
	v_cmp_ne_u32_e32 vcc, 0, v8
	v_cndmask_b32_e64 v8, 0, 1, vcc
	v_lshrrev_b32_e32 v10, 8, v9
	v_bfe_u32 v12, v9, 20, 11
	v_and_or_b32 v8, v10, s15, v8
	v_sub_u32_e32 v13, 0x3f1, v12
	v_or_b32_e32 v10, 0x1000, v8
	v_med3_i32 v13, v13, 0, 13
	v_lshrrev_b32_e32 v14, v13, v10
	v_lshlrev_b32_e32 v13, v13, v14
	v_mul_f16_sdwa v6, v52, v6 dst_sel:DWORD dst_unused:UNUSED_PAD src0_sel:WORD_1 src1_sel:DWORD
	v_cmp_ne_u32_e32 vcc, v13, v10
	v_fma_f16 v6, v52, v11, -v6
	v_cndmask_b32_e64 v10, 0, 1, vcc
	v_add_u32_e32 v12, 0xfffffc10, v12
	v_cvt_f32_f16_e32 v6, v6
	v_or_b32_e32 v10, v14, v10
	v_lshl_or_b32 v13, v12, 12, v8
	v_cmp_gt_i32_e32 vcc, 1, v12
	v_cndmask_b32_e32 v10, v13, v10, vcc
	v_and_b32_e32 v13, 7, v10
	v_cmp_lt_i32_e32 vcc, 5, v13
	v_cmp_eq_u32_e64 s[2:3], 3, v13
	v_lshrrev_b32_e32 v13, 2, v10
	v_cvt_f64_f32_e32 v[10:11], v6
	s_or_b64 vcc, s[2:3], vcc
	v_addc_co_u32_e32 v6, vcc, 0, v13, vcc
	v_mul_f64 v[10:11], v[10:11], s[6:7]
	v_cmp_gt_i32_e32 vcc, 31, v12
	v_cndmask_b32_e32 v6, v2, v6, vcc
	v_cmp_ne_u32_e32 vcc, 0, v8
	v_cndmask_b32_e64 v8, 0, 1, vcc
	v_lshl_or_b32 v8, v8, 9, v2
	v_cmp_eq_u32_e32 vcc, s16, v12
	v_cndmask_b32_e32 v6, v6, v8, vcc
	v_lshrrev_b32_e32 v8, 16, v9
	v_and_or_b32 v6, v8, s17, v6
	v_and_or_b32 v8, v11, s14, v10
	v_cmp_ne_u32_e32 vcc, 0, v8
	v_cndmask_b32_e64 v8, 0, 1, vcc
	v_lshrrev_b32_e32 v9, 8, v11
	v_bfe_u32 v10, v11, 20, 11
	v_and_or_b32 v8, v9, s15, v8
	v_sub_u32_e32 v12, 0x3f1, v10
	v_or_b32_e32 v9, 0x1000, v8
	v_med3_i32 v12, v12, 0, 13
	v_lshrrev_b32_e32 v13, v12, v9
	v_lshlrev_b32_e32 v12, v12, v13
	v_cmp_ne_u32_e32 vcc, v12, v9
	v_cndmask_b32_e64 v9, 0, 1, vcc
	v_add_u32_e32 v10, 0xfffffc10, v10
	v_or_b32_e32 v9, v13, v9
	v_lshl_or_b32 v12, v10, 12, v8
	v_cmp_gt_i32_e32 vcc, 1, v10
	v_cndmask_b32_e32 v9, v12, v9, vcc
	v_and_b32_e32 v12, 7, v9
	v_cmp_lt_i32_e32 vcc, 5, v12
	v_cmp_eq_u32_e64 s[2:3], 3, v12
	v_lshrrev_b32_e32 v9, 2, v9
	s_or_b64 vcc, s[2:3], vcc
	v_addc_co_u32_e32 v9, vcc, 0, v9, vcc
	v_cmp_gt_i32_e32 vcc, 31, v10
	v_lshrrev_b32_e32 v13, 16, v3
	v_cndmask_b32_e32 v12, v2, v9, vcc
	v_mul_f16_sdwa v9, v51, v13 dst_sel:DWORD dst_unused:UNUSED_PAD src0_sel:WORD_1 src1_sel:DWORD
	v_fma_f16 v9, v51, v3, v9
	v_cvt_f32_f16_e32 v9, v9
	v_cmp_ne_u32_e32 vcc, 0, v8
	v_cndmask_b32_e64 v8, 0, 1, vcc
	v_lshl_or_b32 v14, v8, 9, v2
	v_cvt_f64_f32_e32 v[8:9], v9
	v_cmp_eq_u32_e32 vcc, s16, v10
	v_cndmask_b32_e32 v10, v12, v14, vcc
	v_lshrrev_b32_e32 v11, 16, v11
	v_mul_f64 v[8:9], v[8:9], s[6:7]
	v_and_or_b32 v10, v11, s17, v10
	v_and_b32_e32 v6, 0xffff, v6
	v_add_co_u32_e32 v4, vcc, s10, v4
	v_lshl_or_b32 v6, v10, 16, v6
	v_addc_co_u32_e32 v5, vcc, v5, v1, vcc
	global_store_dword v[4:5], v6, off
	v_and_or_b32 v6, v9, s14, v8
	v_cmp_ne_u32_e32 vcc, 0, v6
	v_cndmask_b32_e64 v6, 0, 1, vcc
	v_lshrrev_b32_e32 v8, 8, v9
	v_bfe_u32 v10, v9, 20, 11
	v_and_or_b32 v6, v8, s15, v6
	v_sub_u32_e32 v11, 0x3f1, v10
	v_or_b32_e32 v8, 0x1000, v6
	v_med3_i32 v11, v11, 0, 13
	v_lshrrev_b32_e32 v12, v11, v8
	v_lshlrev_b32_e32 v11, v11, v12
	v_cmp_ne_u32_e32 vcc, v11, v8
	v_mul_f16_sdwa v3, v51, v3 dst_sel:DWORD dst_unused:UNUSED_PAD src0_sel:WORD_1 src1_sel:DWORD
	v_cndmask_b32_e64 v8, 0, 1, vcc
	v_fma_f16 v3, v51, v13, -v3
	v_or_b32_e32 v8, v12, v8
	v_add_u32_e32 v12, 0xfffffc10, v10
	v_cvt_f32_f16_e32 v3, v3
	v_lshl_or_b32 v10, v12, 12, v6
	v_cmp_gt_i32_e32 vcc, 1, v12
	v_cndmask_b32_e32 v8, v10, v8, vcc
	v_and_b32_e32 v10, 7, v8
	v_cmp_lt_i32_e32 vcc, 5, v10
	v_cmp_eq_u32_e64 s[2:3], 3, v10
	v_cvt_f64_f32_e32 v[10:11], v3
	v_lshrrev_b32_e32 v8, 2, v8
	s_or_b64 vcc, s[2:3], vcc
	v_addc_co_u32_e32 v3, vcc, 0, v8, vcc
	v_mul_f64 v[10:11], v[10:11], s[6:7]
	v_cmp_gt_i32_e32 vcc, 31, v12
	v_cndmask_b32_e32 v3, v2, v3, vcc
	v_cmp_ne_u32_e32 vcc, 0, v6
	v_cndmask_b32_e64 v6, 0, 1, vcc
	v_lshl_or_b32 v6, v6, 9, v2
	v_cmp_eq_u32_e32 vcc, s16, v12
	v_cndmask_b32_e32 v3, v3, v6, vcc
	v_lshrrev_b32_e32 v6, 16, v9
	v_and_or_b32 v3, v6, s17, v3
	v_and_or_b32 v6, v11, s14, v10
	v_cmp_ne_u32_e32 vcc, 0, v6
	v_cndmask_b32_e64 v6, 0, 1, vcc
	v_lshrrev_b32_e32 v8, 8, v11
	v_bfe_u32 v9, v11, 20, 11
	v_and_or_b32 v6, v8, s15, v6
	v_sub_u32_e32 v10, 0x3f1, v9
	v_or_b32_e32 v8, 0x1000, v6
	v_med3_i32 v10, v10, 0, 13
	v_lshrrev_b32_e32 v12, v10, v8
	v_lshlrev_b32_e32 v10, v10, v12
	v_cmp_ne_u32_e32 vcc, v10, v8
	v_cndmask_b32_e64 v8, 0, 1, vcc
	v_add_u32_e32 v10, 0xfffffc10, v9
	v_or_b32_e32 v8, v12, v8
	v_lshl_or_b32 v9, v10, 12, v6
	v_cmp_gt_i32_e32 vcc, 1, v10
	v_cndmask_b32_e32 v8, v9, v8, vcc
	v_and_b32_e32 v9, 7, v8
	v_cmp_lt_i32_e32 vcc, 5, v9
	v_cmp_eq_u32_e64 s[2:3], 3, v9
	v_lshrrev_b32_e32 v8, 2, v8
	s_or_b64 vcc, s[2:3], vcc
	v_addc_co_u32_e32 v8, vcc, 0, v8, vcc
	v_cmp_gt_i32_e32 vcc, 31, v10
	v_cndmask_b32_e32 v12, v2, v8, vcc
	v_add_u32_e32 v8, 0x800, v45
	ds_read2_b32 v[8:9], v8 offset0:34 offset1:151
	v_cmp_ne_u32_e32 vcc, 0, v6
	v_cndmask_b32_e64 v6, 0, 1, vcc
	v_lshl_or_b32 v6, v6, 9, v2
	v_cmp_eq_u32_e32 vcc, s16, v10
	v_cndmask_b32_e32 v6, v12, v6, vcc
	v_lshrrev_b32_e32 v10, 16, v11
	s_waitcnt lgkmcnt(0)
	v_lshrrev_b32_e32 v12, 16, v8
	v_and_or_b32 v6, v10, s17, v6
	v_mul_f16_sdwa v10, v50, v12 dst_sel:DWORD dst_unused:UNUSED_PAD src0_sel:WORD_1 src1_sel:DWORD
	v_fma_f16 v10, v50, v8, v10
	v_cvt_f32_f16_e32 v10, v10
	s_mul_hi_u32 s3, s8, 0xfffffd1b
	s_mul_i32 s2, s9, 0xfffffd1b
	s_sub_i32 s3, s3, s8
	v_cvt_f64_f32_e32 v[10:11], v10
	s_add_i32 s3, s3, s2
	s_mul_i32 s2, s8, 0xfffffd1b
	v_and_b32_e32 v3, 0xffff, v3
	v_mul_f64 v[10:11], v[10:11], s[6:7]
	s_lshl_b64 s[4:5], s[2:3], 2
	v_lshl_or_b32 v6, v6, 16, v3
	v_mov_b32_e32 v13, s5
	v_add_co_u32_e32 v3, vcc, s4, v4
	v_addc_co_u32_e32 v4, vcc, v5, v13, vcc
	v_and_or_b32 v5, v11, s14, v10
	v_cmp_ne_u32_e32 vcc, 0, v5
	global_store_dword v[3:4], v6, off
	v_cndmask_b32_e64 v5, 0, 1, vcc
	v_lshrrev_b32_e32 v6, 8, v11
	v_and_or_b32 v10, v6, s15, v5
	v_bfe_u32 v6, v11, 20, 11
	v_sub_u32_e32 v14, 0x3f1, v6
	v_or_b32_e32 v5, 0x1000, v10
	v_med3_i32 v14, v14, 0, 13
	v_lshrrev_b32_e32 v15, v14, v5
	v_lshlrev_b32_e32 v14, v14, v15
	v_mul_f16_sdwa v8, v50, v8 dst_sel:DWORD dst_unused:UNUSED_PAD src0_sel:WORD_1 src1_sel:DWORD
	v_cmp_ne_u32_e32 vcc, v14, v5
	v_fma_f16 v8, v50, v12, -v8
	v_cndmask_b32_e64 v5, 0, 1, vcc
	v_add_u32_e32 v14, 0xfffffc10, v6
	v_cvt_f32_f16_e32 v8, v8
	v_or_b32_e32 v5, v15, v5
	v_lshl_or_b32 v6, v14, 12, v10
	v_cmp_gt_i32_e32 vcc, 1, v14
	v_cndmask_b32_e32 v5, v6, v5, vcc
	v_and_b32_e32 v6, 7, v5
	v_cmp_lt_i32_e32 vcc, 5, v6
	v_cmp_eq_u32_e64 s[2:3], 3, v6
	v_lshrrev_b32_e32 v12, 2, v5
	v_cvt_f64_f32_e32 v[5:6], v8
	s_or_b64 vcc, s[2:3], vcc
	v_addc_co_u32_e32 v8, vcc, 0, v12, vcc
	v_mul_f64 v[5:6], v[5:6], s[6:7]
	v_cmp_gt_i32_e32 vcc, 31, v14
	v_cndmask_b32_e32 v8, v2, v8, vcc
	v_cmp_ne_u32_e32 vcc, 0, v10
	v_cndmask_b32_e64 v10, 0, 1, vcc
	v_lshl_or_b32 v10, v10, 9, v2
	v_cmp_eq_u32_e32 vcc, s16, v14
	v_cndmask_b32_e32 v8, v8, v10, vcc
	v_and_or_b32 v5, v6, s14, v5
	v_lshrrev_b32_e32 v10, 16, v11
	v_cmp_ne_u32_e32 vcc, 0, v5
	v_and_or_b32 v8, v10, s17, v8
	v_cndmask_b32_e64 v5, 0, 1, vcc
	v_lshrrev_b32_e32 v10, 8, v6
	v_bfe_u32 v11, v6, 20, 11
	v_and_or_b32 v5, v10, s15, v5
	v_sub_u32_e32 v12, 0x3f1, v11
	v_or_b32_e32 v10, 0x1000, v5
	v_med3_i32 v12, v12, 0, 13
	v_lshrrev_b32_e32 v14, v12, v10
	v_lshlrev_b32_e32 v12, v12, v14
	v_cmp_ne_u32_e32 vcc, v12, v10
	v_cndmask_b32_e64 v10, 0, 1, vcc
	v_add_u32_e32 v12, 0xfffffc10, v11
	v_or_b32_e32 v10, v14, v10
	v_lshl_or_b32 v11, v12, 12, v5
	v_cmp_gt_i32_e32 vcc, 1, v12
	v_cndmask_b32_e32 v10, v11, v10, vcc
	v_and_b32_e32 v11, 7, v10
	v_cmp_lt_i32_e32 vcc, 5, v11
	v_cmp_eq_u32_e64 s[2:3], 3, v11
	v_lshrrev_b32_e32 v10, 2, v10
	s_or_b64 vcc, s[2:3], vcc
	v_addc_co_u32_e32 v10, vcc, 0, v10, vcc
	v_cmp_gt_i32_e32 vcc, 31, v12
	v_lshrrev_b32_e32 v15, 16, v7
	v_cndmask_b32_e32 v14, v2, v10, vcc
	v_mul_f16_sdwa v10, v49, v15 dst_sel:DWORD dst_unused:UNUSED_PAD src0_sel:WORD_1 src1_sel:DWORD
	v_fma_f16 v10, v49, v7, v10
	v_cvt_f32_f16_e32 v10, v10
	v_cmp_ne_u32_e32 vcc, 0, v5
	v_cndmask_b32_e64 v5, 0, 1, vcc
	v_lshl_or_b32 v5, v5, 9, v2
	v_cvt_f64_f32_e32 v[10:11], v10
	v_cmp_eq_u32_e32 vcc, s16, v12
	v_cndmask_b32_e32 v5, v14, v5, vcc
	v_lshrrev_b32_e32 v6, 16, v6
	v_and_or_b32 v12, v6, s17, v5
	v_mul_f64 v[5:6], v[10:11], s[6:7]
	v_add_co_u32_e32 v3, vcc, s10, v3
	v_and_b32_e32 v8, 0xffff, v8
	v_addc_co_u32_e32 v4, vcc, v4, v1, vcc
	v_lshl_or_b32 v8, v12, 16, v8
	global_store_dword v[3:4], v8, off
	v_and_or_b32 v5, v6, s14, v5
	v_cmp_ne_u32_e32 vcc, 0, v5
	v_cndmask_b32_e64 v5, 0, 1, vcc
	v_lshrrev_b32_e32 v8, 8, v6
	v_bfe_u32 v10, v6, 20, 11
	v_and_or_b32 v5, v8, s15, v5
	v_sub_u32_e32 v11, 0x3f1, v10
	v_or_b32_e32 v8, 0x1000, v5
	v_med3_i32 v11, v11, 0, 13
	v_lshrrev_b32_e32 v12, v11, v8
	v_lshlrev_b32_e32 v11, v11, v12
	v_mul_f16_sdwa v7, v49, v7 dst_sel:DWORD dst_unused:UNUSED_PAD src0_sel:WORD_1 src1_sel:DWORD
	v_cmp_ne_u32_e32 vcc, v11, v8
	v_fma_f16 v7, v49, v15, -v7
	v_cndmask_b32_e64 v8, 0, 1, vcc
	v_add_u32_e32 v10, 0xfffffc10, v10
	v_cvt_f32_f16_e32 v7, v7
	v_or_b32_e32 v8, v12, v8
	v_lshl_or_b32 v11, v10, 12, v5
	v_cmp_gt_i32_e32 vcc, 1, v10
	v_cndmask_b32_e32 v8, v11, v8, vcc
	v_and_b32_e32 v11, 7, v8
	v_cmp_lt_i32_e32 vcc, 5, v11
	v_cmp_eq_u32_e64 s[2:3], 3, v11
	v_lshrrev_b32_e32 v11, 2, v8
	v_cvt_f64_f32_e32 v[7:8], v7
	s_or_b64 vcc, s[2:3], vcc
	v_addc_co_u32_e32 v11, vcc, 0, v11, vcc
	v_mul_f64 v[7:8], v[7:8], s[6:7]
	v_cmp_gt_i32_e32 vcc, 31, v10
	v_cndmask_b32_e32 v11, v2, v11, vcc
	v_cmp_ne_u32_e32 vcc, 0, v5
	v_cndmask_b32_e64 v5, 0, 1, vcc
	v_lshl_or_b32 v5, v5, 9, v2
	v_cmp_eq_u32_e32 vcc, s16, v10
	v_cndmask_b32_e32 v5, v11, v5, vcc
	v_lshrrev_b32_e32 v6, 16, v6
	v_and_or_b32 v10, v6, s17, v5
	v_and_or_b32 v5, v8, s14, v7
	v_cmp_ne_u32_e32 vcc, 0, v5
	v_cndmask_b32_e64 v5, 0, 1, vcc
	v_lshrrev_b32_e32 v6, 8, v8
	v_bfe_u32 v7, v8, 20, 11
	v_and_or_b32 v5, v6, s15, v5
	v_sub_u32_e32 v11, 0x3f1, v7
	v_or_b32_e32 v6, 0x1000, v5
	v_med3_i32 v11, v11, 0, 13
	v_lshrrev_b32_e32 v12, v11, v6
	v_lshlrev_b32_e32 v11, v11, v12
	v_cmp_ne_u32_e32 vcc, v11, v6
	v_cndmask_b32_e64 v6, 0, 1, vcc
	v_add_u32_e32 v7, 0xfffffc10, v7
	v_or_b32_e32 v6, v12, v6
	v_lshl_or_b32 v11, v7, 12, v5
	v_cmp_gt_i32_e32 vcc, 1, v7
	v_cndmask_b32_e32 v6, v11, v6, vcc
	v_and_b32_e32 v11, 7, v6
	v_cmp_lt_i32_e32 vcc, 5, v11
	v_cmp_eq_u32_e64 s[2:3], 3, v11
	v_lshrrev_b32_e32 v6, 2, v6
	s_or_b64 vcc, s[2:3], vcc
	v_addc_co_u32_e32 v6, vcc, 0, v6, vcc
	v_cmp_gt_i32_e32 vcc, 31, v7
	v_lshrrev_b32_e32 v12, 16, v0
	v_cndmask_b32_e32 v11, v2, v6, vcc
	v_mul_f16_sdwa v6, v48, v12 dst_sel:DWORD dst_unused:UNUSED_PAD src0_sel:WORD_1 src1_sel:DWORD
	v_fma_f16 v6, v48, v0, v6
	v_cvt_f32_f16_e32 v6, v6
	v_cmp_ne_u32_e32 vcc, 0, v5
	v_cndmask_b32_e64 v5, 0, 1, vcc
	v_lshl_or_b32 v14, v5, 9, v2
	v_cvt_f64_f32_e32 v[5:6], v6
	v_cmp_eq_u32_e32 vcc, s16, v7
	v_cndmask_b32_e32 v7, v11, v14, vcc
	v_lshrrev_b32_e32 v8, 16, v8
	v_mul_f64 v[5:6], v[5:6], s[6:7]
	v_add_co_u32_e32 v3, vcc, s10, v3
	v_and_or_b32 v7, v8, s17, v7
	v_and_b32_e32 v8, 0xffff, v10
	v_addc_co_u32_e32 v4, vcc, v4, v1, vcc
	v_lshl_or_b32 v7, v7, 16, v8
	v_and_or_b32 v5, v6, s14, v5
	v_cmp_ne_u32_e32 vcc, 0, v5
	global_store_dword v[3:4], v7, off
	v_cndmask_b32_e64 v5, 0, 1, vcc
	v_lshrrev_b32_e32 v7, 8, v6
	v_bfe_u32 v8, v6, 20, 11
	v_and_or_b32 v5, v7, s15, v5
	v_sub_u32_e32 v10, 0x3f1, v8
	v_or_b32_e32 v7, 0x1000, v5
	v_med3_i32 v10, v10, 0, 13
	v_lshrrev_b32_e32 v11, v10, v7
	v_lshlrev_b32_e32 v10, v10, v11
	v_mul_f16_sdwa v0, v48, v0 dst_sel:DWORD dst_unused:UNUSED_PAD src0_sel:WORD_1 src1_sel:DWORD
	v_cmp_ne_u32_e32 vcc, v10, v7
	v_fma_f16 v0, v48, v12, -v0
	v_cndmask_b32_e64 v7, 0, 1, vcc
	v_add_u32_e32 v10, 0xfffffc10, v8
	v_cvt_f32_f16_e32 v0, v0
	v_or_b32_e32 v7, v11, v7
	v_lshl_or_b32 v8, v10, 12, v5
	v_cmp_gt_i32_e32 vcc, 1, v10
	v_cndmask_b32_e32 v7, v8, v7, vcc
	v_and_b32_e32 v8, 7, v7
	v_cmp_lt_i32_e32 vcc, 5, v8
	v_cmp_eq_u32_e64 s[2:3], 3, v8
	v_lshrrev_b32_e32 v11, 2, v7
	v_cvt_f64_f32_e32 v[7:8], v0
	s_or_b64 vcc, s[2:3], vcc
	v_addc_co_u32_e32 v0, vcc, 0, v11, vcc
	v_mul_f64 v[7:8], v[7:8], s[6:7]
	v_cmp_gt_i32_e32 vcc, 31, v10
	v_cndmask_b32_e32 v0, v2, v0, vcc
	v_cmp_ne_u32_e32 vcc, 0, v5
	v_cndmask_b32_e64 v5, 0, 1, vcc
	v_lshl_or_b32 v5, v5, 9, v2
	v_cmp_eq_u32_e32 vcc, s16, v10
	v_cndmask_b32_e32 v0, v0, v5, vcc
	v_lshrrev_b32_e32 v5, 16, v6
	v_and_or_b32 v0, v5, s17, v0
	v_and_or_b32 v5, v8, s14, v7
	v_cmp_ne_u32_e32 vcc, 0, v5
	v_cndmask_b32_e64 v5, 0, 1, vcc
	v_lshrrev_b32_e32 v6, 8, v8
	v_bfe_u32 v7, v8, 20, 11
	v_and_or_b32 v5, v6, s15, v5
	v_sub_u32_e32 v10, 0x3f1, v7
	v_or_b32_e32 v6, 0x1000, v5
	v_med3_i32 v10, v10, 0, 13
	v_lshrrev_b32_e32 v11, v10, v6
	v_lshlrev_b32_e32 v10, v10, v11
	v_cmp_ne_u32_e32 vcc, v10, v6
	v_cndmask_b32_e64 v6, 0, 1, vcc
	v_add_u32_e32 v7, 0xfffffc10, v7
	v_or_b32_e32 v6, v11, v6
	v_lshl_or_b32 v10, v7, 12, v5
	v_cmp_gt_i32_e32 vcc, 1, v7
	v_cndmask_b32_e32 v6, v10, v6, vcc
	v_and_b32_e32 v10, 7, v6
	v_cmp_lt_i32_e32 vcc, 5, v10
	v_cmp_eq_u32_e64 s[2:3], 3, v10
	v_lshrrev_b32_e32 v6, 2, v6
	s_or_b64 vcc, s[2:3], vcc
	v_addc_co_u32_e32 v6, vcc, 0, v6, vcc
	v_cmp_gt_i32_e32 vcc, 31, v7
	v_lshrrev_b32_e32 v11, 16, v9
	v_cndmask_b32_e32 v10, v2, v6, vcc
	v_mul_f16_sdwa v6, v47, v11 dst_sel:DWORD dst_unused:UNUSED_PAD src0_sel:WORD_1 src1_sel:DWORD
	v_fma_f16 v6, v47, v9, v6
	v_cvt_f32_f16_e32 v6, v6
	v_cmp_ne_u32_e32 vcc, 0, v5
	v_cndmask_b32_e64 v5, 0, 1, vcc
	v_lshl_or_b32 v12, v5, 9, v2
	v_cvt_f64_f32_e32 v[5:6], v6
	v_cmp_eq_u32_e32 vcc, s16, v7
	v_cndmask_b32_e32 v7, v10, v12, vcc
	v_lshrrev_b32_e32 v8, 16, v8
	v_mul_f64 v[5:6], v[5:6], s[6:7]
	v_and_or_b32 v7, v8, s17, v7
	v_and_b32_e32 v0, 0xffff, v0
	v_add_co_u32_e32 v3, vcc, s4, v3
	v_lshl_or_b32 v0, v7, 16, v0
	v_addc_co_u32_e32 v4, vcc, v4, v13, vcc
	global_store_dword v[3:4], v0, off
	v_and_or_b32 v0, v6, s14, v5
	v_cmp_ne_u32_e32 vcc, 0, v0
	v_cndmask_b32_e64 v0, 0, 1, vcc
	v_lshrrev_b32_e32 v5, 8, v6
	v_bfe_u32 v7, v6, 20, 11
	v_and_or_b32 v0, v5, s15, v0
	v_sub_u32_e32 v8, 0x3f1, v7
	v_or_b32_e32 v5, 0x1000, v0
	v_med3_i32 v8, v8, 0, 13
	v_lshrrev_b32_e32 v10, v8, v5
	v_lshlrev_b32_e32 v8, v8, v10
	v_cmp_ne_u32_e32 vcc, v8, v5
	v_mul_f16_sdwa v8, v47, v9 dst_sel:DWORD dst_unused:UNUSED_PAD src0_sel:WORD_1 src1_sel:DWORD
	v_cndmask_b32_e64 v5, 0, 1, vcc
	v_fma_f16 v8, v47, v11, -v8
	v_or_b32_e32 v5, v10, v5
	v_add_u32_e32 v10, 0xfffffc10, v7
	v_cvt_f32_f16_e32 v8, v8
	v_lshl_or_b32 v7, v10, 12, v0
	v_cmp_gt_i32_e32 vcc, 1, v10
	v_cndmask_b32_e32 v5, v7, v5, vcc
	v_and_b32_e32 v7, 7, v5
	v_cmp_lt_i32_e32 vcc, 5, v7
	v_cmp_eq_u32_e64 s[2:3], 3, v7
	v_cvt_f64_f32_e32 v[7:8], v8
	v_lshrrev_b32_e32 v5, 2, v5
	s_or_b64 vcc, s[2:3], vcc
	v_addc_co_u32_e32 v5, vcc, 0, v5, vcc
	v_mul_f64 v[7:8], v[7:8], s[6:7]
	v_cmp_gt_i32_e32 vcc, 31, v10
	v_cndmask_b32_e32 v5, v2, v5, vcc
	v_cmp_ne_u32_e32 vcc, 0, v0
	v_cndmask_b32_e64 v0, 0, 1, vcc
	v_lshl_or_b32 v0, v0, 9, v2
	v_cmp_eq_u32_e32 vcc, s16, v10
	v_cndmask_b32_e32 v0, v5, v0, vcc
	v_lshrrev_b32_e32 v5, 16, v6
	v_and_or_b32 v0, v5, s17, v0
	v_and_or_b32 v5, v8, s14, v7
	v_cmp_ne_u32_e32 vcc, 0, v5
	v_cndmask_b32_e64 v5, 0, 1, vcc
	v_lshrrev_b32_e32 v6, 8, v8
	v_bfe_u32 v7, v8, 20, 11
	v_and_or_b32 v5, v6, s15, v5
	v_sub_u32_e32 v9, 0x3f1, v7
	v_or_b32_e32 v6, 0x1000, v5
	v_med3_i32 v9, v9, 0, 13
	v_lshrrev_b32_e32 v10, v9, v6
	v_lshlrev_b32_e32 v9, v9, v10
	v_cmp_ne_u32_e32 vcc, v9, v6
	v_cndmask_b32_e64 v6, 0, 1, vcc
	v_add_u32_e32 v7, 0xfffffc10, v7
	v_or_b32_e32 v6, v10, v6
	v_lshl_or_b32 v9, v7, 12, v5
	v_cmp_gt_i32_e32 vcc, 1, v7
	v_cndmask_b32_e32 v6, v9, v6, vcc
	v_and_b32_e32 v9, 7, v6
	v_cmp_lt_i32_e32 vcc, 5, v9
	v_cmp_eq_u32_e64 s[2:3], 3, v9
	ds_read_b32 v9, v45 offset:4368
	v_lshrrev_b32_e32 v6, 2, v6
	s_or_b64 vcc, s[2:3], vcc
	v_addc_co_u32_e32 v6, vcc, 0, v6, vcc
	v_cmp_gt_i32_e32 vcc, 31, v7
	s_waitcnt lgkmcnt(0)
	v_lshrrev_b32_e32 v11, 16, v9
	v_cndmask_b32_e32 v10, v2, v6, vcc
	v_mul_f16_sdwa v6, v46, v11 dst_sel:DWORD dst_unused:UNUSED_PAD src0_sel:WORD_1 src1_sel:DWORD
	v_fma_f16 v6, v46, v9, v6
	v_cvt_f32_f16_e32 v6, v6
	v_cmp_ne_u32_e32 vcc, 0, v5
	v_cndmask_b32_e64 v5, 0, 1, vcc
	v_lshl_or_b32 v12, v5, 9, v2
	v_cvt_f64_f32_e32 v[5:6], v6
	v_cmp_eq_u32_e32 vcc, s16, v7
	v_cndmask_b32_e32 v7, v10, v12, vcc
	v_lshrrev_b32_e32 v8, 16, v8
	v_mul_f64 v[5:6], v[5:6], s[6:7]
	v_and_or_b32 v7, v8, s17, v7
	v_and_b32_e32 v0, 0xffff, v0
	v_add_co_u32_e32 v3, vcc, s10, v3
	v_lshl_or_b32 v0, v7, 16, v0
	v_addc_co_u32_e32 v4, vcc, v4, v1, vcc
	global_store_dword v[3:4], v0, off
	v_and_or_b32 v0, v6, s14, v5
	v_cmp_ne_u32_e32 vcc, 0, v0
	v_cndmask_b32_e64 v0, 0, 1, vcc
	v_lshrrev_b32_e32 v5, 8, v6
	v_bfe_u32 v7, v6, 20, 11
	v_and_or_b32 v0, v5, s15, v0
	v_sub_u32_e32 v8, 0x3f1, v7
	v_or_b32_e32 v5, 0x1000, v0
	v_med3_i32 v8, v8, 0, 13
	v_lshrrev_b32_e32 v10, v8, v5
	v_lshlrev_b32_e32 v8, v8, v10
	v_cmp_ne_u32_e32 vcc, v8, v5
	v_mul_f16_sdwa v8, v46, v9 dst_sel:DWORD dst_unused:UNUSED_PAD src0_sel:WORD_1 src1_sel:DWORD
	v_cndmask_b32_e64 v5, 0, 1, vcc
	v_fma_f16 v8, v46, v11, -v8
	v_or_b32_e32 v5, v10, v5
	v_add_u32_e32 v10, 0xfffffc10, v7
	v_cvt_f32_f16_e32 v8, v8
	v_lshl_or_b32 v7, v10, 12, v0
	v_cmp_gt_i32_e32 vcc, 1, v10
	v_cndmask_b32_e32 v5, v7, v5, vcc
	v_and_b32_e32 v7, 7, v5
	v_cmp_lt_i32_e32 vcc, 5, v7
	v_cmp_eq_u32_e64 s[2:3], 3, v7
	v_cvt_f64_f32_e32 v[7:8], v8
	v_lshrrev_b32_e32 v5, 2, v5
	s_or_b64 vcc, s[2:3], vcc
	v_addc_co_u32_e32 v5, vcc, 0, v5, vcc
	v_mul_f64 v[7:8], v[7:8], s[6:7]
	v_cmp_gt_i32_e32 vcc, 31, v10
	v_cndmask_b32_e32 v5, v2, v5, vcc
	v_cmp_ne_u32_e32 vcc, 0, v0
	v_cndmask_b32_e64 v0, 0, 1, vcc
	v_lshl_or_b32 v0, v0, 9, v2
	v_cmp_eq_u32_e32 vcc, s16, v10
	v_cndmask_b32_e32 v0, v5, v0, vcc
	v_lshrrev_b32_e32 v5, 16, v6
	v_and_or_b32 v0, v5, s17, v0
	v_and_or_b32 v5, v8, s14, v7
	v_cmp_ne_u32_e32 vcc, 0, v5
	v_cndmask_b32_e64 v5, 0, 1, vcc
	v_lshrrev_b32_e32 v6, 8, v8
	v_bfe_u32 v7, v8, 20, 11
	v_and_or_b32 v5, v6, s15, v5
	v_sub_u32_e32 v9, 0x3f1, v7
	v_or_b32_e32 v6, 0x1000, v5
	v_med3_i32 v9, v9, 0, 13
	v_lshrrev_b32_e32 v10, v9, v6
	v_lshlrev_b32_e32 v9, v9, v10
	v_cmp_ne_u32_e32 vcc, v9, v6
	v_cndmask_b32_e64 v6, 0, 1, vcc
	v_add_u32_e32 v7, 0xfffffc10, v7
	v_or_b32_e32 v6, v10, v6
	v_lshl_or_b32 v9, v7, 12, v5
	v_cmp_gt_i32_e32 vcc, 1, v7
	v_cndmask_b32_e32 v6, v9, v6, vcc
	v_and_b32_e32 v9, 7, v6
	v_cmp_lt_i32_e32 vcc, 5, v9
	v_cmp_eq_u32_e64 s[2:3], 3, v9
	v_lshrrev_b32_e32 v6, 2, v6
	s_or_b64 vcc, s[2:3], vcc
	v_addc_co_u32_e32 v6, vcc, 0, v6, vcc
	v_cmp_gt_i32_e32 vcc, 31, v7
	v_cndmask_b32_e32 v6, v2, v6, vcc
	v_cmp_ne_u32_e32 vcc, 0, v5
	v_cndmask_b32_e64 v5, 0, 1, vcc
	v_lshl_or_b32 v5, v5, 9, v2
	v_cmp_eq_u32_e32 vcc, s16, v7
	v_cndmask_b32_e32 v5, v6, v5, vcc
	v_lshrrev_b32_e32 v6, 16, v8
	v_and_or_b32 v5, v6, s17, v5
	v_and_b32_e32 v0, 0xffff, v0
	v_lshl_or_b32 v5, v5, 16, v0
	v_add_co_u32_e32 v0, vcc, s10, v3
	v_addc_co_u32_e32 v1, vcc, v4, v1, vcc
	global_store_dword v[0:1], v5, off
	s_and_b64 exec, exec, s[0:1]
	s_cbranch_execz .LBB0_31
; %bb.30:
	global_load_dword v3, v[20:21], off offset:1404
	global_load_dword v11, v[20:21], off offset:3120
	ds_read_b32 v4, v45 offset:1404
	ds_read_b32 v12, v45 offset:3120
	v_mov_b32_e32 v13, s5
	ds_read_b32 v14, v45 offset:4836
	s_waitcnt lgkmcnt(2)
	v_lshrrev_b32_e32 v5, 16, v4
	s_waitcnt lgkmcnt(1)
	v_lshrrev_b32_e32 v15, 16, v12
	s_waitcnt vmcnt(1)
	v_mul_f16_sdwa v6, v5, v3 dst_sel:DWORD dst_unused:UNUSED_PAD src0_sel:DWORD src1_sel:WORD_1
	v_mul_f16_sdwa v7, v4, v3 dst_sel:DWORD dst_unused:UNUSED_PAD src0_sel:DWORD src1_sel:WORD_1
	s_waitcnt vmcnt(0)
	v_mul_f16_sdwa v8, v15, v11 dst_sel:DWORD dst_unused:UNUSED_PAD src0_sel:DWORD src1_sel:WORD_1
	v_fma_f16 v4, v4, v3, v6
	v_fma_f16 v3, v3, v5, -v7
	v_add_co_u32_e32 v7, vcc, s18, v20
	v_cvt_f32_f16_e32 v5, v3
	v_fma_f16 v3, v12, v11, v8
	v_addc_co_u32_e32 v8, vcc, 0, v21, vcc
	v_add_co_u32_e32 v0, vcc, s4, v0
	v_addc_co_u32_e32 v1, vcc, v1, v13, vcc
	global_load_dword v13, v[7:8], off offset:740
	v_cvt_f32_f16_e32 v4, v4
	v_cvt_f32_f16_e32 v9, v3
	v_cvt_f64_f32_e32 v[5:6], v5
	v_cvt_f64_f32_e32 v[3:4], v4
	;; [unrolled: 1-line block ×3, first 2 shown]
	v_mul_f64 v[5:6], v[5:6], s[6:7]
	v_mul_f64 v[3:4], v[3:4], s[6:7]
	;; [unrolled: 1-line block ×3, first 2 shown]
	v_and_or_b32 v5, v6, s14, v5
	v_lshrrev_b32_e32 v16, 8, v6
	v_and_or_b32 v3, v4, s14, v3
	v_cmp_ne_u32_e32 vcc, 0, v3
	v_lshrrev_b32_e32 v9, 8, v4
	v_bfe_u32 v10, v4, 20, 11
	v_and_or_b32 v7, v8, s14, v7
	v_cndmask_b32_e64 v3, 0, 1, vcc
	v_cmp_ne_u32_e32 vcc, 0, v5
	v_bfe_u32 v17, v6, 20, 11
	v_bfe_u32 v19, v8, 20, 11
	v_sub_u32_e32 v20, 0x3f1, v10
	v_cndmask_b32_e64 v5, 0, 1, vcc
	v_cmp_ne_u32_e32 vcc, 0, v7
	v_and_or_b32 v3, v9, s15, v3
	v_lshrrev_b32_e32 v18, 8, v8
	v_sub_u32_e32 v21, 0x3f1, v17
	v_cndmask_b32_e64 v7, 0, 1, vcc
	v_sub_u32_e32 v22, 0x3f1, v19
	v_med3_i32 v9, v20, 0, 13
	v_and_or_b32 v5, v16, s15, v5
	v_or_b32_e32 v20, 0x1000, v3
	v_add_u32_e32 v10, 0xfffffc10, v10
	v_med3_i32 v16, v21, 0, 13
	v_and_or_b32 v7, v18, s15, v7
	v_med3_i32 v18, v22, 0, 13
	v_cmp_ne_u32_e32 vcc, 0, v3
	v_or_b32_e32 v22, 0x1000, v5
	v_lshrrev_b32_e32 v25, v9, v20
	v_add_u32_e32 v17, 0xfffffc10, v17
	v_lshl_or_b32 v21, v10, 12, v3
	v_cndmask_b32_e64 v3, 0, 1, vcc
	v_cmp_ne_u32_e32 vcc, 0, v5
	v_or_b32_e32 v24, 0x1000, v7
	v_lshrrev_b32_e32 v26, v16, v22
	v_lshlrev_b32_e32 v9, v9, v25
	v_lshl_or_b32 v23, v17, 12, v5
	v_cndmask_b32_e64 v5, 0, 1, vcc
	v_lshrrev_b32_e32 v27, v18, v24
	v_lshlrev_b32_e32 v16, v16, v26
	v_cmp_ne_u32_e32 vcc, v9, v20
	v_lshlrev_b32_e32 v18, v18, v27
	v_cndmask_b32_e64 v9, 0, 1, vcc
	v_cmp_ne_u32_e32 vcc, v16, v22
	v_cndmask_b32_e64 v16, 0, 1, vcc
	v_cmp_ne_u32_e32 vcc, v18, v24
	v_cndmask_b32_e64 v18, 0, 1, vcc
	v_or_b32_e32 v9, v25, v9
	v_cmp_gt_i32_e32 vcc, 1, v10
	v_cndmask_b32_e32 v9, v21, v9, vcc
	v_or_b32_e32 v16, v26, v16
	v_cmp_gt_i32_e32 vcc, 1, v17
	v_and_b32_e32 v20, 7, v9
	v_cndmask_b32_e32 v16, v23, v16, vcc
	v_cmp_lt_i32_e32 vcc, 5, v20
	v_cmp_eq_u32_e64 s[0:1], 3, v20
	v_lshrrev_b32_e32 v9, 2, v9
	v_and_b32_e32 v21, 7, v16
	s_or_b64 vcc, s[0:1], vcc
	v_cmp_lt_i32_e64 s[2:3], 5, v21
	v_cmp_eq_u32_e64 s[4:5], 3, v21
	v_addc_co_u32_e32 v9, vcc, 0, v9, vcc
	v_lshrrev_b32_e32 v16, 2, v16
	s_or_b64 vcc, s[4:5], s[2:3]
	v_addc_co_u32_e32 v16, vcc, 0, v16, vcc
	v_cmp_gt_i32_e32 vcc, 31, v10
	v_cndmask_b32_e32 v9, v2, v9, vcc
	v_cmp_gt_i32_e32 vcc, 31, v17
	v_lshl_or_b32 v3, v3, 9, v2
	v_cndmask_b32_e32 v16, v2, v16, vcc
	v_cmp_eq_u32_e32 vcc, s16, v10
	v_lshl_or_b32 v5, v5, 9, v2
	v_cndmask_b32_e32 v3, v9, v3, vcc
	v_cmp_eq_u32_e32 vcc, s16, v17
	v_lshrrev_b32_e32 v4, 16, v4
	v_lshrrev_b32_e32 v6, 16, v6
	v_cndmask_b32_e32 v5, v16, v5, vcc
	v_and_or_b32 v3, v4, s17, v3
	v_and_or_b32 v4, v6, s17, v5
	v_mul_f16_sdwa v6, v12, v11 dst_sel:DWORD dst_unused:UNUSED_PAD src0_sel:DWORD src1_sel:WORD_1
	v_and_b32_e32 v3, 0xffff, v3
	v_fma_f16 v6, v11, v15, -v6
	v_lshl_or_b32 v3, v4, 16, v3
	v_add_u32_e32 v5, 0xfffffc10, v19
	v_cvt_f32_f16_e32 v6, v6
	global_store_dword v[0:1], v3, off
	v_or_b32_e32 v3, v27, v18
	v_lshl_or_b32 v4, v5, 12, v7
	v_cmp_gt_i32_e32 vcc, 1, v5
	v_cndmask_b32_e32 v3, v4, v3, vcc
	v_and_b32_e32 v4, 7, v3
	v_cmp_lt_i32_e32 vcc, 5, v4
	v_cmp_eq_u32_e64 s[0:1], 3, v4
	v_lshrrev_b32_e32 v9, 2, v3
	v_cvt_f64_f32_e32 v[3:4], v6
	s_or_b64 vcc, s[0:1], vcc
	v_addc_co_u32_e32 v6, vcc, 0, v9, vcc
	v_mul_f64 v[3:4], v[3:4], s[6:7]
	v_cmp_gt_i32_e32 vcc, 31, v5
	v_cndmask_b32_e32 v6, v2, v6, vcc
	v_cmp_ne_u32_e32 vcc, 0, v7
	v_cndmask_b32_e64 v7, 0, 1, vcc
	v_lshl_or_b32 v7, v7, 9, v2
	v_cmp_eq_u32_e32 vcc, s16, v5
	v_cndmask_b32_e32 v5, v6, v7, vcc
	v_and_or_b32 v3, v4, s14, v3
	v_lshrrev_b32_e32 v6, 16, v8
	v_cmp_ne_u32_e32 vcc, 0, v3
	v_and_or_b32 v7, v6, s17, v5
	v_cndmask_b32_e64 v3, 0, 1, vcc
	v_lshrrev_b32_e32 v5, 8, v4
	v_bfe_u32 v6, v4, 20, 11
	v_and_or_b32 v3, v5, s15, v3
	v_sub_u32_e32 v8, 0x3f1, v6
	v_or_b32_e32 v5, 0x1000, v3
	v_med3_i32 v8, v8, 0, 13
	v_lshrrev_b32_e32 v9, v8, v5
	v_lshlrev_b32_e32 v8, v8, v9
	v_cmp_ne_u32_e32 vcc, v8, v5
	v_cndmask_b32_e64 v5, 0, 1, vcc
	v_add_u32_e32 v6, 0xfffffc10, v6
	v_or_b32_e32 v5, v9, v5
	v_lshl_or_b32 v8, v6, 12, v3
	v_cmp_gt_i32_e32 vcc, 1, v6
	v_cndmask_b32_e32 v5, v8, v5, vcc
	v_and_b32_e32 v8, 7, v5
	v_cmp_lt_i32_e32 vcc, 5, v8
	v_cmp_eq_u32_e64 s[0:1], 3, v8
	s_waitcnt lgkmcnt(0)
	v_lshrrev_b32_e32 v8, 16, v14
	v_lshrrev_b32_e32 v5, 2, v5
	s_or_b64 vcc, s[0:1], vcc
	s_waitcnt vmcnt(1)
	v_mul_f16_sdwa v9, v8, v13 dst_sel:DWORD dst_unused:UNUSED_PAD src0_sel:DWORD src1_sel:WORD_1
	v_addc_co_u32_e32 v5, vcc, 0, v5, vcc
	v_fma_f16 v9, v14, v13, v9
	v_cmp_gt_i32_e32 vcc, 31, v6
	v_cvt_f32_f16_e32 v9, v9
	v_cndmask_b32_e32 v5, v2, v5, vcc
	v_cmp_ne_u32_e32 vcc, 0, v3
	v_cndmask_b32_e64 v3, 0, 1, vcc
	v_lshl_or_b32 v3, v3, 9, v2
	v_cmp_eq_u32_e32 vcc, s16, v6
	v_cndmask_b32_e32 v3, v5, v3, vcc
	v_cvt_f64_f32_e32 v[5:6], v9
	v_lshrrev_b32_e32 v4, 16, v4
	v_and_or_b32 v9, v4, s17, v3
	v_and_b32_e32 v7, 0xffff, v7
	v_mul_f64 v[3:4], v[5:6], s[6:7]
	v_lshl_or_b32 v5, v9, 16, v7
	v_mov_b32_e32 v7, s11
	v_add_co_u32_e32 v0, vcc, s10, v0
	v_addc_co_u32_e32 v1, vcc, v1, v7, vcc
	global_store_dword v[0:1], v5, off
	v_and_or_b32 v3, v4, s14, v3
	v_cmp_ne_u32_e32 vcc, 0, v3
	v_cndmask_b32_e64 v3, 0, 1, vcc
	v_lshrrev_b32_e32 v5, 8, v4
	v_bfe_u32 v6, v4, 20, 11
	v_and_or_b32 v3, v5, s15, v3
	v_sub_u32_e32 v9, 0x3f1, v6
	v_or_b32_e32 v5, 0x1000, v3
	v_med3_i32 v9, v9, 0, 13
	v_lshrrev_b32_e32 v10, v9, v5
	v_lshlrev_b32_e32 v9, v9, v10
	v_cmp_ne_u32_e32 vcc, v9, v5
	v_cndmask_b32_e64 v5, 0, 1, vcc
	v_or_b32_e32 v5, v10, v5
	v_mul_f16_sdwa v10, v14, v13 dst_sel:DWORD dst_unused:UNUSED_PAD src0_sel:DWORD src1_sel:WORD_1
	v_fma_f16 v8, v13, v8, -v10
	v_add_u32_e32 v9, 0xfffffc10, v6
	v_cvt_f32_f16_e32 v8, v8
	v_lshl_or_b32 v6, v9, 12, v3
	v_cmp_gt_i32_e32 vcc, 1, v9
	v_cndmask_b32_e32 v5, v6, v5, vcc
	v_and_b32_e32 v6, 7, v5
	v_cmp_lt_i32_e32 vcc, 5, v6
	v_cmp_eq_u32_e64 s[0:1], 3, v6
	v_lshrrev_b32_e32 v10, 2, v5
	v_cvt_f64_f32_e32 v[5:6], v8
	s_or_b64 vcc, s[0:1], vcc
	v_addc_co_u32_e32 v8, vcc, 0, v10, vcc
	v_mul_f64 v[5:6], v[5:6], s[6:7]
	v_cmp_gt_i32_e32 vcc, 31, v9
	v_cndmask_b32_e32 v8, v2, v8, vcc
	v_cmp_ne_u32_e32 vcc, 0, v3
	v_cndmask_b32_e64 v3, 0, 1, vcc
	v_lshl_or_b32 v3, v3, 9, v2
	v_cmp_eq_u32_e32 vcc, s16, v9
	v_cndmask_b32_e32 v3, v8, v3, vcc
	v_lshrrev_b32_e32 v4, 16, v4
	v_and_or_b32 v3, v4, s17, v3
	v_and_or_b32 v4, v6, s14, v5
	v_cmp_ne_u32_e32 vcc, 0, v4
	v_cndmask_b32_e64 v4, 0, 1, vcc
	v_lshrrev_b32_e32 v5, 8, v6
	v_bfe_u32 v8, v6, 20, 11
	v_and_or_b32 v4, v5, s15, v4
	v_sub_u32_e32 v9, 0x3f1, v8
	v_or_b32_e32 v5, 0x1000, v4
	v_med3_i32 v9, v9, 0, 13
	v_lshrrev_b32_e32 v10, v9, v5
	v_lshlrev_b32_e32 v9, v9, v10
	v_cmp_ne_u32_e32 vcc, v9, v5
	v_cndmask_b32_e64 v5, 0, 1, vcc
	v_add_u32_e32 v8, 0xfffffc10, v8
	v_or_b32_e32 v5, v10, v5
	v_lshl_or_b32 v9, v8, 12, v4
	v_cmp_gt_i32_e32 vcc, 1, v8
	v_cndmask_b32_e32 v5, v9, v5, vcc
	v_and_b32_e32 v9, 7, v5
	v_cmp_lt_i32_e32 vcc, 5, v9
	v_cmp_eq_u32_e64 s[0:1], 3, v9
	v_lshrrev_b32_e32 v5, 2, v5
	s_or_b64 vcc, s[0:1], vcc
	v_addc_co_u32_e32 v5, vcc, 0, v5, vcc
	v_cmp_gt_i32_e32 vcc, 31, v8
	v_cndmask_b32_e32 v5, v2, v5, vcc
	v_cmp_ne_u32_e32 vcc, 0, v4
	v_cndmask_b32_e64 v4, 0, 1, vcc
	v_lshl_or_b32 v2, v4, 9, v2
	v_cmp_eq_u32_e32 vcc, s16, v8
	v_cndmask_b32_e32 v2, v5, v2, vcc
	v_lshrrev_b32_e32 v4, 16, v6
	v_and_or_b32 v2, v4, s17, v2
	v_and_b32_e32 v3, 0xffff, v3
	v_add_co_u32_e32 v0, vcc, s10, v0
	v_lshl_or_b32 v2, v2, 16, v3
	v_addc_co_u32_e32 v1, vcc, v1, v7, vcc
	global_store_dword v[0:1], v2, off
.LBB0_31:
	s_endpgm
	.section	.rodata,"a",@progbits
	.p2align	6, 0x0
	.amdhsa_kernel bluestein_single_fwd_len1287_dim1_half_op_CI_CI
		.amdhsa_group_segment_fixed_size 5148
		.amdhsa_private_segment_fixed_size 0
		.amdhsa_kernarg_size 104
		.amdhsa_user_sgpr_count 6
		.amdhsa_user_sgpr_private_segment_buffer 1
		.amdhsa_user_sgpr_dispatch_ptr 0
		.amdhsa_user_sgpr_queue_ptr 0
		.amdhsa_user_sgpr_kernarg_segment_ptr 1
		.amdhsa_user_sgpr_dispatch_id 0
		.amdhsa_user_sgpr_flat_scratch_init 0
		.amdhsa_user_sgpr_private_segment_size 0
		.amdhsa_uses_dynamic_stack 0
		.amdhsa_system_sgpr_private_segment_wavefront_offset 0
		.amdhsa_system_sgpr_workgroup_id_x 1
		.amdhsa_system_sgpr_workgroup_id_y 0
		.amdhsa_system_sgpr_workgroup_id_z 0
		.amdhsa_system_sgpr_workgroup_info 0
		.amdhsa_system_vgpr_workitem_id 0
		.amdhsa_next_free_vgpr 205
		.amdhsa_next_free_sgpr 29
		.amdhsa_reserve_vcc 1
		.amdhsa_reserve_flat_scratch 0
		.amdhsa_float_round_mode_32 0
		.amdhsa_float_round_mode_16_64 0
		.amdhsa_float_denorm_mode_32 3
		.amdhsa_float_denorm_mode_16_64 3
		.amdhsa_dx10_clamp 1
		.amdhsa_ieee_mode 1
		.amdhsa_fp16_overflow 0
		.amdhsa_exception_fp_ieee_invalid_op 0
		.amdhsa_exception_fp_denorm_src 0
		.amdhsa_exception_fp_ieee_div_zero 0
		.amdhsa_exception_fp_ieee_overflow 0
		.amdhsa_exception_fp_ieee_underflow 0
		.amdhsa_exception_fp_ieee_inexact 0
		.amdhsa_exception_int_div_zero 0
	.end_amdhsa_kernel
	.text
.Lfunc_end0:
	.size	bluestein_single_fwd_len1287_dim1_half_op_CI_CI, .Lfunc_end0-bluestein_single_fwd_len1287_dim1_half_op_CI_CI
                                        ; -- End function
	.section	.AMDGPU.csdata,"",@progbits
; Kernel info:
; codeLenInByte = 24044
; NumSgprs: 33
; NumVgprs: 205
; ScratchSize: 0
; MemoryBound: 0
; FloatMode: 240
; IeeeMode: 1
; LDSByteSize: 5148 bytes/workgroup (compile time only)
; SGPRBlocks: 4
; VGPRBlocks: 51
; NumSGPRsForWavesPerEU: 33
; NumVGPRsForWavesPerEU: 205
; Occupancy: 1
; WaveLimiterHint : 1
; COMPUTE_PGM_RSRC2:SCRATCH_EN: 0
; COMPUTE_PGM_RSRC2:USER_SGPR: 6
; COMPUTE_PGM_RSRC2:TRAP_HANDLER: 0
; COMPUTE_PGM_RSRC2:TGID_X_EN: 1
; COMPUTE_PGM_RSRC2:TGID_Y_EN: 0
; COMPUTE_PGM_RSRC2:TGID_Z_EN: 0
; COMPUTE_PGM_RSRC2:TIDIG_COMP_CNT: 0
	.type	__hip_cuid_9f9600d75216b7a6,@object ; @__hip_cuid_9f9600d75216b7a6
	.section	.bss,"aw",@nobits
	.globl	__hip_cuid_9f9600d75216b7a6
__hip_cuid_9f9600d75216b7a6:
	.byte	0                               ; 0x0
	.size	__hip_cuid_9f9600d75216b7a6, 1

	.ident	"AMD clang version 19.0.0git (https://github.com/RadeonOpenCompute/llvm-project roc-6.4.0 25133 c7fe45cf4b819c5991fe208aaa96edf142730f1d)"
	.section	".note.GNU-stack","",@progbits
	.addrsig
	.addrsig_sym __hip_cuid_9f9600d75216b7a6
	.amdgpu_metadata
---
amdhsa.kernels:
  - .args:
      - .actual_access:  read_only
        .address_space:  global
        .offset:         0
        .size:           8
        .value_kind:     global_buffer
      - .actual_access:  read_only
        .address_space:  global
        .offset:         8
        .size:           8
        .value_kind:     global_buffer
      - .actual_access:  read_only
        .address_space:  global
        .offset:         16
        .size:           8
        .value_kind:     global_buffer
      - .actual_access:  read_only
        .address_space:  global
        .offset:         24
        .size:           8
        .value_kind:     global_buffer
      - .actual_access:  read_only
        .address_space:  global
        .offset:         32
        .size:           8
        .value_kind:     global_buffer
      - .offset:         40
        .size:           8
        .value_kind:     by_value
      - .address_space:  global
        .offset:         48
        .size:           8
        .value_kind:     global_buffer
      - .address_space:  global
        .offset:         56
        .size:           8
        .value_kind:     global_buffer
      - .address_space:  global
        .offset:         64
        .size:           8
        .value_kind:     global_buffer
      - .address_space:  global
        .offset:         72
        .size:           8
        .value_kind:     global_buffer
      - .offset:         80
        .size:           4
        .value_kind:     by_value
      - .address_space:  global
        .offset:         88
        .size:           8
        .value_kind:     global_buffer
      - .address_space:  global
        .offset:         96
        .size:           8
        .value_kind:     global_buffer
    .group_segment_fixed_size: 5148
    .kernarg_segment_align: 8
    .kernarg_segment_size: 104
    .language:       OpenCL C
    .language_version:
      - 2
      - 0
    .max_flat_workgroup_size: 117
    .name:           bluestein_single_fwd_len1287_dim1_half_op_CI_CI
    .private_segment_fixed_size: 0
    .sgpr_count:     33
    .sgpr_spill_count: 0
    .symbol:         bluestein_single_fwd_len1287_dim1_half_op_CI_CI.kd
    .uniform_work_group_size: 1
    .uses_dynamic_stack: false
    .vgpr_count:     205
    .vgpr_spill_count: 0
    .wavefront_size: 64
amdhsa.target:   amdgcn-amd-amdhsa--gfx906
amdhsa.version:
  - 1
  - 2
...

	.end_amdgpu_metadata
